;; amdgpu-corpus repo=ROCm/rocFFT kind=compiled arch=gfx1030 opt=O3
	.text
	.amdgcn_target "amdgcn-amd-amdhsa--gfx1030"
	.amdhsa_code_object_version 6
	.protected	fft_rtc_back_len1680_factors_2_2_2_2_3_7_5_wgs_112_tpt_112_halfLds_dp_ip_CI_sbrr_dirReg ; -- Begin function fft_rtc_back_len1680_factors_2_2_2_2_3_7_5_wgs_112_tpt_112_halfLds_dp_ip_CI_sbrr_dirReg
	.globl	fft_rtc_back_len1680_factors_2_2_2_2_3_7_5_wgs_112_tpt_112_halfLds_dp_ip_CI_sbrr_dirReg
	.p2align	8
	.type	fft_rtc_back_len1680_factors_2_2_2_2_3_7_5_wgs_112_tpt_112_halfLds_dp_ip_CI_sbrr_dirReg,@function
fft_rtc_back_len1680_factors_2_2_2_2_3_7_5_wgs_112_tpt_112_halfLds_dp_ip_CI_sbrr_dirReg: ; @fft_rtc_back_len1680_factors_2_2_2_2_3_7_5_wgs_112_tpt_112_halfLds_dp_ip_CI_sbrr_dirReg
; %bb.0:
	s_clause 0x2
	s_load_dwordx2 s[14:15], s[4:5], 0x18
	s_load_dwordx4 s[8:11], s[4:5], 0x0
	s_load_dwordx2 s[12:13], s[4:5], 0x50
	v_mul_u32_u24_e32 v1, 0x24a, v0
	v_mov_b32_e32 v3, 0
	v_add_nc_u32_sdwa v5, s6, v1 dst_sel:DWORD dst_unused:UNUSED_PAD src0_sel:DWORD src1_sel:WORD_1
	v_mov_b32_e32 v1, 0
	v_mov_b32_e32 v6, v3
	v_mov_b32_e32 v2, 0
	s_waitcnt lgkmcnt(0)
	s_load_dwordx2 s[2:3], s[14:15], 0x0
	v_cmp_lt_u64_e64 s0, s[10:11], 2
	s_and_b32 vcc_lo, exec_lo, s0
	s_cbranch_vccnz .LBB0_8
; %bb.1:
	s_load_dwordx2 s[0:1], s[4:5], 0x10
	v_mov_b32_e32 v1, 0
	s_add_u32 s6, s14, 8
	v_mov_b32_e32 v2, 0
	s_addc_u32 s7, s15, 0
	s_mov_b64 s[18:19], 1
	s_waitcnt lgkmcnt(0)
	s_add_u32 s16, s0, 8
	s_addc_u32 s17, s1, 0
.LBB0_2:                                ; =>This Inner Loop Header: Depth=1
	s_load_dwordx2 s[20:21], s[16:17], 0x0
                                        ; implicit-def: $vgpr7_vgpr8
	s_mov_b32 s0, exec_lo
	s_waitcnt lgkmcnt(0)
	v_or_b32_e32 v4, s21, v6
	v_cmpx_ne_u64_e32 0, v[3:4]
	s_xor_b32 s1, exec_lo, s0
	s_cbranch_execz .LBB0_4
; %bb.3:                                ;   in Loop: Header=BB0_2 Depth=1
	v_cvt_f32_u32_e32 v4, s20
	v_cvt_f32_u32_e32 v7, s21
	s_sub_u32 s0, 0, s20
	s_subb_u32 s22, 0, s21
	v_fmac_f32_e32 v4, 0x4f800000, v7
	v_rcp_f32_e32 v4, v4
	v_mul_f32_e32 v4, 0x5f7ffffc, v4
	v_mul_f32_e32 v7, 0x2f800000, v4
	v_trunc_f32_e32 v7, v7
	v_fmac_f32_e32 v4, 0xcf800000, v7
	v_cvt_u32_f32_e32 v7, v7
	v_cvt_u32_f32_e32 v4, v4
	v_mul_lo_u32 v8, s0, v7
	v_mul_hi_u32 v9, s0, v4
	v_mul_lo_u32 v10, s22, v4
	v_add_nc_u32_e32 v8, v9, v8
	v_mul_lo_u32 v9, s0, v4
	v_add_nc_u32_e32 v8, v8, v10
	v_mul_hi_u32 v10, v4, v9
	v_mul_lo_u32 v11, v4, v8
	v_mul_hi_u32 v12, v4, v8
	v_mul_hi_u32 v13, v7, v9
	v_mul_lo_u32 v9, v7, v9
	v_mul_hi_u32 v14, v7, v8
	v_mul_lo_u32 v8, v7, v8
	v_add_co_u32 v10, vcc_lo, v10, v11
	v_add_co_ci_u32_e32 v11, vcc_lo, 0, v12, vcc_lo
	v_add_co_u32 v9, vcc_lo, v10, v9
	v_add_co_ci_u32_e32 v9, vcc_lo, v11, v13, vcc_lo
	v_add_co_ci_u32_e32 v10, vcc_lo, 0, v14, vcc_lo
	v_add_co_u32 v8, vcc_lo, v9, v8
	v_add_co_ci_u32_e32 v9, vcc_lo, 0, v10, vcc_lo
	v_add_co_u32 v4, vcc_lo, v4, v8
	v_add_co_ci_u32_e32 v7, vcc_lo, v7, v9, vcc_lo
	v_mul_hi_u32 v8, s0, v4
	v_mul_lo_u32 v10, s22, v4
	v_mul_lo_u32 v9, s0, v7
	v_add_nc_u32_e32 v8, v8, v9
	v_mul_lo_u32 v9, s0, v4
	v_add_nc_u32_e32 v8, v8, v10
	v_mul_hi_u32 v10, v4, v9
	v_mul_lo_u32 v11, v4, v8
	v_mul_hi_u32 v12, v4, v8
	v_mul_hi_u32 v13, v7, v9
	v_mul_lo_u32 v9, v7, v9
	v_mul_hi_u32 v14, v7, v8
	v_mul_lo_u32 v8, v7, v8
	v_add_co_u32 v10, vcc_lo, v10, v11
	v_add_co_ci_u32_e32 v11, vcc_lo, 0, v12, vcc_lo
	v_add_co_u32 v9, vcc_lo, v10, v9
	v_add_co_ci_u32_e32 v9, vcc_lo, v11, v13, vcc_lo
	v_add_co_ci_u32_e32 v10, vcc_lo, 0, v14, vcc_lo
	v_add_co_u32 v8, vcc_lo, v9, v8
	v_add_co_ci_u32_e32 v9, vcc_lo, 0, v10, vcc_lo
	v_add_co_u32 v4, vcc_lo, v4, v8
	v_add_co_ci_u32_e32 v11, vcc_lo, v7, v9, vcc_lo
	v_mul_hi_u32 v13, v5, v4
	v_mad_u64_u32 v[9:10], null, v6, v4, 0
	v_mad_u64_u32 v[7:8], null, v5, v11, 0
	;; [unrolled: 1-line block ×3, first 2 shown]
	v_add_co_u32 v4, vcc_lo, v13, v7
	v_add_co_ci_u32_e32 v7, vcc_lo, 0, v8, vcc_lo
	v_add_co_u32 v4, vcc_lo, v4, v9
	v_add_co_ci_u32_e32 v4, vcc_lo, v7, v10, vcc_lo
	v_add_co_ci_u32_e32 v7, vcc_lo, 0, v12, vcc_lo
	v_add_co_u32 v4, vcc_lo, v4, v11
	v_add_co_ci_u32_e32 v9, vcc_lo, 0, v7, vcc_lo
	v_mul_lo_u32 v10, s21, v4
	v_mad_u64_u32 v[7:8], null, s20, v4, 0
	v_mul_lo_u32 v11, s20, v9
	v_sub_co_u32 v7, vcc_lo, v5, v7
	v_add3_u32 v8, v8, v11, v10
	v_sub_nc_u32_e32 v10, v6, v8
	v_subrev_co_ci_u32_e64 v10, s0, s21, v10, vcc_lo
	v_add_co_u32 v11, s0, v4, 2
	v_add_co_ci_u32_e64 v12, s0, 0, v9, s0
	v_sub_co_u32 v13, s0, v7, s20
	v_sub_co_ci_u32_e32 v8, vcc_lo, v6, v8, vcc_lo
	v_subrev_co_ci_u32_e64 v10, s0, 0, v10, s0
	v_cmp_le_u32_e32 vcc_lo, s20, v13
	v_cmp_eq_u32_e64 s0, s21, v8
	v_cndmask_b32_e64 v13, 0, -1, vcc_lo
	v_cmp_le_u32_e32 vcc_lo, s21, v10
	v_cndmask_b32_e64 v14, 0, -1, vcc_lo
	v_cmp_le_u32_e32 vcc_lo, s20, v7
	;; [unrolled: 2-line block ×3, first 2 shown]
	v_cndmask_b32_e64 v15, 0, -1, vcc_lo
	v_cmp_eq_u32_e32 vcc_lo, s21, v10
	v_cndmask_b32_e64 v7, v15, v7, s0
	v_cndmask_b32_e32 v10, v14, v13, vcc_lo
	v_add_co_u32 v13, vcc_lo, v4, 1
	v_add_co_ci_u32_e32 v14, vcc_lo, 0, v9, vcc_lo
	v_cmp_ne_u32_e32 vcc_lo, 0, v10
	v_cndmask_b32_e32 v8, v14, v12, vcc_lo
	v_cndmask_b32_e32 v10, v13, v11, vcc_lo
	v_cmp_ne_u32_e32 vcc_lo, 0, v7
	v_cndmask_b32_e32 v8, v9, v8, vcc_lo
	v_cndmask_b32_e32 v7, v4, v10, vcc_lo
.LBB0_4:                                ;   in Loop: Header=BB0_2 Depth=1
	s_andn2_saveexec_b32 s0, s1
	s_cbranch_execz .LBB0_6
; %bb.5:                                ;   in Loop: Header=BB0_2 Depth=1
	v_cvt_f32_u32_e32 v4, s20
	s_sub_i32 s1, 0, s20
	v_rcp_iflag_f32_e32 v4, v4
	v_mul_f32_e32 v4, 0x4f7ffffe, v4
	v_cvt_u32_f32_e32 v4, v4
	v_mul_lo_u32 v7, s1, v4
	v_mul_hi_u32 v7, v4, v7
	v_add_nc_u32_e32 v4, v4, v7
	v_mul_hi_u32 v4, v5, v4
	v_mul_lo_u32 v7, v4, s20
	v_add_nc_u32_e32 v8, 1, v4
	v_sub_nc_u32_e32 v7, v5, v7
	v_subrev_nc_u32_e32 v9, s20, v7
	v_cmp_le_u32_e32 vcc_lo, s20, v7
	v_cndmask_b32_e32 v7, v7, v9, vcc_lo
	v_cndmask_b32_e32 v4, v4, v8, vcc_lo
	v_cmp_le_u32_e32 vcc_lo, s20, v7
	v_add_nc_u32_e32 v8, 1, v4
	v_cndmask_b32_e32 v7, v4, v8, vcc_lo
	v_mov_b32_e32 v8, v3
.LBB0_6:                                ;   in Loop: Header=BB0_2 Depth=1
	s_or_b32 exec_lo, exec_lo, s0
	s_load_dwordx2 s[0:1], s[6:7], 0x0
	v_mul_lo_u32 v4, v8, s20
	v_mul_lo_u32 v11, v7, s21
	v_mad_u64_u32 v[9:10], null, v7, s20, 0
	s_add_u32 s18, s18, 1
	s_addc_u32 s19, s19, 0
	s_add_u32 s6, s6, 8
	s_addc_u32 s7, s7, 0
	;; [unrolled: 2-line block ×3, first 2 shown]
	v_add3_u32 v4, v10, v11, v4
	v_sub_co_u32 v5, vcc_lo, v5, v9
	v_sub_co_ci_u32_e32 v4, vcc_lo, v6, v4, vcc_lo
	s_waitcnt lgkmcnt(0)
	v_mul_lo_u32 v6, s1, v5
	v_mul_lo_u32 v4, s0, v4
	v_mad_u64_u32 v[1:2], null, s0, v5, v[1:2]
	v_cmp_ge_u64_e64 s0, s[18:19], s[10:11]
	s_and_b32 vcc_lo, exec_lo, s0
	v_add3_u32 v2, v6, v2, v4
	s_cbranch_vccnz .LBB0_9
; %bb.7:                                ;   in Loop: Header=BB0_2 Depth=1
	v_mov_b32_e32 v5, v7
	v_mov_b32_e32 v6, v8
	s_branch .LBB0_2
.LBB0_8:
	v_mov_b32_e32 v8, v6
	v_mov_b32_e32 v7, v5
.LBB0_9:
	s_lshl_b64 s[0:1], s[10:11], 3
	v_mul_hi_u32 v3, 0x2492493, v0
	s_add_u32 s0, s14, s0
	s_addc_u32 s1, s15, s1
	s_load_dwordx2 s[4:5], s[4:5], 0x20
	s_load_dwordx2 s[0:1], s[0:1], 0x0
                                        ; implicit-def: $vgpr105
                                        ; implicit-def: $vgpr107
                                        ; implicit-def: $vgpr113
                                        ; implicit-def: $vgpr112
                                        ; implicit-def: $vgpr83
	v_mul_u32_u24_e32 v3, 0x70, v3
	v_sub_nc_u32_e32 v100, v0, v3
	v_add_nc_u32_e32 v99, 0x70, v100
	v_add_nc_u32_e32 v98, 0xe0, v100
	;; [unrolled: 1-line block ×5, first 2 shown]
	s_waitcnt lgkmcnt(0)
	v_cmp_gt_u64_e32 vcc_lo, s[4:5], v[7:8]
	v_mul_lo_u32 v3, s0, v8
	v_mul_lo_u32 v4, s1, v7
	v_mad_u64_u32 v[0:1], null, s0, v7, v[1:2]
	v_cmp_le_u64_e64 s0, s[4:5], v[7:8]
	v_add_nc_u32_e32 v103, 0x2a0, v100
	v_add3_u32 v1, v4, v1, v3
	s_and_saveexec_b32 s1, s0
	s_xor_b32 s0, exec_lo, s1
; %bb.10:
	v_add_nc_u32_e32 v105, 0x70, v100
	v_add_nc_u32_e32 v107, 0xe0, v100
	;; [unrolled: 1-line block ×6, first 2 shown]
; %bb.11:
	s_or_saveexec_b32 s1, s0
	v_lshlrev_b64 v[80:81], 4, v[0:1]
                                        ; implicit-def: $vgpr66_vgpr67
                                        ; implicit-def: $vgpr62_vgpr63
                                        ; implicit-def: $vgpr46_vgpr47
                                        ; implicit-def: $vgpr34_vgpr35
                                        ; implicit-def: $vgpr54_vgpr55
                                        ; implicit-def: $vgpr38_vgpr39
                                        ; implicit-def: $vgpr50_vgpr51
                                        ; implicit-def: $vgpr30_vgpr31
                                        ; implicit-def: $vgpr42_vgpr43
                                        ; implicit-def: $vgpr26_vgpr27
                                        ; implicit-def: $vgpr22_vgpr23
                                        ; implicit-def: $vgpr18_vgpr19
                                        ; implicit-def: $vgpr14_vgpr15
                                        ; implicit-def: $vgpr10_vgpr11
                                        ; implicit-def: $vgpr6_vgpr7
                                        ; implicit-def: $vgpr2_vgpr3
	s_xor_b32 exec_lo, exec_lo, s1
	s_cbranch_execz .LBB0_15
; %bb.12:
	v_add_nc_u32_e32 v6, 0x348, v100
	v_mad_u64_u32 v[0:1], null, s2, v100, 0
	v_mad_u64_u32 v[8:9], null, s2, v99, 0
	;; [unrolled: 1-line block ×3, first 2 shown]
	v_add_nc_u32_e32 v7, 0x3b8, v100
	v_add_co_u32 v56, s0, s12, v80
	v_mad_u64_u32 v[16:17], null, s2, v98, 0
	v_mad_u64_u32 v[10:11], null, s2, v7, 0
	;; [unrolled: 1-line block ×3, first 2 shown]
	v_mov_b32_e32 v1, v3
	v_add_nc_u32_e32 v22, 0x428, v100
	v_add_co_ci_u32_e64 v57, s0, s13, v81, s0
	v_mad_u64_u32 v[20:21], null, s2, v102, 0
	v_mad_u64_u32 v[5:6], null, s3, v6, v[1:2]
	v_mov_b32_e32 v1, v4
	v_mov_b32_e32 v4, v9
	;; [unrolled: 1-line block ×3, first 2 shown]
	v_mad_u64_u32 v[18:19], null, s2, v22, 0
	v_lshlrev_b64 v[0:1], 4, v[0:1]
	v_mov_b32_e32 v3, v5
	v_mad_u64_u32 v[4:5], null, s3, v99, v[4:5]
	v_mad_u64_u32 v[11:12], null, s3, v7, v[6:7]
	v_lshlrev_b64 v[2:3], 4, v[2:3]
	v_add_co_u32 v0, s0, v56, v0
	v_add_co_ci_u32_e64 v1, s0, v57, v1, s0
	v_mov_b32_e32 v9, v4
	v_add_co_u32 v5, s0, v56, v2
	v_mov_b32_e32 v12, v17
	v_lshlrev_b64 v[10:11], 4, v[10:11]
	v_lshlrev_b64 v[8:9], 4, v[8:9]
	v_add_co_ci_u32_e64 v6, s0, v57, v3, s0
	v_mad_u64_u32 v[12:13], null, s3, v98, v[12:13]
	v_mov_b32_e32 v13, v19
	v_add_co_u32 v8, s0, v56, v8
	v_add_co_ci_u32_e64 v9, s0, v57, v9, s0
	v_add_co_u32 v14, s0, v56, v10
	v_mov_b32_e32 v19, v21
	v_mov_b32_e32 v17, v12
	v_add_nc_u32_e32 v36, 0x508, v100
	v_mad_u64_u32 v[22:23], null, s3, v22, v[13:14]
	v_add_nc_u32_e32 v23, 0x498, v100
	v_mad_u64_u32 v[26:27], null, s3, v102, v[19:20]
	v_lshlrev_b64 v[16:17], 4, v[16:17]
	v_add_co_ci_u32_e64 v15, s0, v57, v11, s0
	v_mad_u64_u32 v[24:25], null, s2, v23, 0
	v_mov_b32_e32 v19, v22
	v_mov_b32_e32 v21, v26
	v_mad_u64_u32 v[26:27], null, s2, v101, 0
	v_add_co_u32 v16, s0, v56, v16
	v_mov_b32_e32 v22, v25
	v_lshlrev_b64 v[18:19], 4, v[18:19]
	v_add_co_ci_u32_e64 v17, s0, v57, v17, s0
	v_mad_u64_u32 v[30:31], null, s2, v36, 0
	v_mad_u64_u32 v[22:23], null, s3, v23, v[22:23]
	v_add_co_u32 v28, s0, v56, v18
	v_mov_b32_e32 v18, v27
	v_add_co_ci_u32_e64 v29, s0, v57, v19, s0
	v_lshlrev_b64 v[32:33], 4, v[20:21]
	v_mov_b32_e32 v25, v22
	v_mad_u64_u32 v[34:35], null, s3, v101, v[18:19]
	s_clause 0x5
	global_load_dwordx4 v[0:3], v[0:1], off
	global_load_dwordx4 v[4:7], v[5:6], off
	;; [unrolled: 1-line block ×6, first 2 shown]
	v_mov_b32_e32 v28, v31
	v_lshlrev_b64 v[24:25], 4, v[24:25]
	v_add_co_u32 v32, s0, v56, v32
	v_mov_b32_e32 v27, v34
	v_mad_u64_u32 v[28:29], null, s3, v36, v[28:29]
	v_add_co_ci_u32_e64 v33, s0, v57, v33, s0
	v_add_co_u32 v34, s0, v56, v24
	v_add_co_ci_u32_e64 v35, s0, v57, v25, s0
	v_lshlrev_b64 v[24:25], 4, v[26:27]
	v_add_nc_u32_e32 v40, 0x578, v100
	v_mad_u64_u32 v[36:37], null, s2, v82, 0
	v_mov_b32_e32 v31, v28
	v_mad_u64_u32 v[44:45], null, s2, v103, 0
	v_mad_u64_u32 v[28:29], null, s2, v40, 0
	v_add_co_u32 v38, s0, v56, v24
	v_add_co_ci_u32_e64 v39, s0, v57, v25, s0
	v_lshlrev_b64 v[25:26], 4, v[30:31]
	v_mov_b32_e32 v24, v37
	v_mov_b32_e32 v27, v29
	v_add_nc_u32_e32 v50, 0x5e8, v100
	s_mov_b32 s4, exec_lo
                                        ; implicit-def: $vgpr60_vgpr61
                                        ; implicit-def: $vgpr64_vgpr65
	v_mad_u64_u32 v[29:30], null, s3, v82, v[24:25]
	v_mad_u64_u32 v[30:31], null, s3, v40, v[27:28]
	v_mad_u64_u32 v[46:47], null, s2, v50, 0
	v_mov_b32_e32 v24, v45
	v_add_co_u32 v48, s0, v56, v25
	v_mov_b32_e32 v37, v29
	v_add_co_ci_u32_e64 v49, s0, v57, v26, s0
	v_mov_b32_e32 v29, v30
	v_mad_u64_u32 v[30:31], null, s3, v103, v[24:25]
	s_clause 0x1
	global_load_dwordx4 v[24:27], v[32:33], off
	global_load_dwordx4 v[40:43], v[34:35], off
	v_lshlrev_b64 v[32:33], 4, v[36:37]
	v_mov_b32_e32 v31, v47
	v_lshlrev_b64 v[28:29], 4, v[28:29]
	v_mov_b32_e32 v45, v30
	v_mad_u64_u32 v[34:35], null, s3, v50, v[31:32]
	v_add_co_u32 v32, s0, v56, v32
	v_add_co_ci_u32_e64 v33, s0, v57, v33, s0
	v_lshlrev_b64 v[30:31], 4, v[44:45]
	v_mov_b32_e32 v47, v34
	v_add_co_u32 v34, s0, v56, v28
	v_add_co_ci_u32_e64 v35, s0, v57, v29, s0
	v_lshlrev_b64 v[28:29], 4, v[46:47]
	v_add_co_u32 v44, s0, v56, v30
	v_add_co_ci_u32_e64 v45, s0, v57, v31, s0
	v_add_co_u32 v46, s0, v56, v28
	v_add_co_ci_u32_e64 v47, s0, v57, v29, s0
	s_clause 0x5
	global_load_dwordx4 v[28:31], v[38:39], off
	global_load_dwordx4 v[48:51], v[48:49], off
	;; [unrolled: 1-line block ×6, first 2 shown]
	v_cmpx_gt_u32_e32 56, v100
	s_cbranch_execz .LBB0_14
; %bb.13:
	v_add_nc_u32_e32 v62, 0x310, v100
	v_add_nc_u32_e32 v64, 0x658, v100
	v_mad_u64_u32 v[58:59], null, s2, v62, 0
	v_mad_u64_u32 v[60:61], null, s2, v64, 0
	;; [unrolled: 1-line block ×4, first 2 shown]
	v_mov_b32_e32 v59, v62
	v_lshlrev_b64 v[58:59], 4, v[58:59]
	v_mov_b32_e32 v61, v63
	v_add_co_u32 v58, s0, v56, v58
	v_lshlrev_b64 v[60:61], 4, v[60:61]
	v_add_co_ci_u32_e64 v59, s0, v57, v59, s0
	v_add_co_u32 v56, s0, v56, v60
	v_add_co_ci_u32_e64 v57, s0, v57, v61, s0
	s_clause 0x1
	global_load_dwordx4 v[60:63], v[58:59], off
	global_load_dwordx4 v[64:67], v[56:57], off
.LBB0_14:
	s_or_b32 exec_lo, exec_lo, s4
	v_mov_b32_e32 v83, v103
	v_mov_b32_e32 v112, v101
	v_mov_b32_e32 v113, v102
	v_mov_b32_e32 v107, v98
	v_mov_b32_e32 v105, v99
.LBB0_15:
	s_or_b32 exec_lo, exec_lo, s1
	s_waitcnt vmcnt(12)
	v_add_f64 v[70:71], v[0:1], -v[4:5]
	s_waitcnt vmcnt(0)
	v_add_f64 v[58:59], v[60:61], -v[64:65]
	v_add_f64 v[74:75], v[8:9], -v[12:13]
	;; [unrolled: 1-line block ×7, first 2 shown]
	v_add_nc_u32_e32 v104, 0x310, v100
	v_lshl_add_u32 v20, v107, 4, 0
	v_cmp_gt_u32_e64 s0, 56, v100
	v_lshl_add_u32 v21, v104, 4, 0
	v_fma_f64 v[68:69], v[0:1], 2.0, -v[70:71]
	v_fma_f64 v[56:57], v[60:61], 2.0, -v[58:59]
	;; [unrolled: 1-line block ×8, first 2 shown]
	v_lshl_add_u32 v25, v100, 4, 0
	v_lshl_add_u32 v24, v105, 4, 0
	;; [unrolled: 1-line block ×6, first 2 shown]
	ds_write_b128 v25, v[68:71]
	ds_write_b128 v24, v[72:75]
	ds_write_b128 v20, v[76:79]
	ds_write_b128 v0, v[84:87]
	ds_write_b128 v29, v[88:91]
	ds_write_b128 v28, v[92:95]
	ds_write_b128 v1, v[108:111]
	s_and_saveexec_b32 s1, s0
	s_cbranch_execz .LBB0_17
; %bb.16:
	ds_write_b128 v21, v[56:59]
.LBB0_17:
	s_or_b32 exec_lo, exec_lo, s1
	v_lshlrev_b32_e32 v4, 3, v100
	v_lshlrev_b32_e32 v32, 3, v107
	;; [unrolled: 1-line block ×5, first 2 shown]
	v_sub_nc_u32_e32 v106, v25, v4
	v_sub_nc_u32_e32 v4, v20, v32
	v_lshlrev_b32_e32 v33, 3, v105
	v_lshlrev_b32_e32 v65, 3, v83
	s_waitcnt lgkmcnt(0)
	v_add_nc_u32_e32 v5, 0x1800, v106
	v_add_nc_u32_e32 v16, 0x2000, v106
	s_barrier
	buffer_gl0_inv
	ds_read_b64 v[12:13], v106
	ds_read_b64 v[8:9], v4
	ds_read2_b64 v[72:75], v5 offset0:72 offset1:184
	ds_read2_b64 v[68:71], v16 offset0:40 offset1:152
	v_add_nc_u32_e32 v4, 0x2800, v106
	v_sub_nc_u32_e32 v5, v0, v60
	v_sub_nc_u32_e32 v37, v29, v61
	;; [unrolled: 1-line block ×5, first 2 shown]
	ds_read2_b64 v[76:79], v4 offset0:8 offset1:120
	ds_read_b64 v[16:17], v5
	ds_read_b64 v[40:41], v37
	;; [unrolled: 1-line block ×5, first 2 shown]
	ds_read_b64 v[36:37], v106 offset:12096
	s_and_saveexec_b32 s1, s0
	s_cbranch_execz .LBB0_19
; %bb.18:
	ds_read_b64 v[56:57], v106 offset:6272
	ds_read_b64 v[58:59], v106 offset:12992
.LBB0_19:
	s_or_b32 exec_lo, exec_lo, s1
	v_add_f64 v[86:87], v[2:3], -v[6:7]
	v_add_f64 v[4:5], v[62:63], -v[66:67]
	;; [unrolled: 1-line block ×8, first 2 shown]
	v_sub_nc_u32_e32 v14, 0, v33
	v_sub_nc_u32_e32 v15, 0, v32
	;; [unrolled: 1-line block ×4, first 2 shown]
	s_waitcnt lgkmcnt(0)
	s_barrier
	buffer_gl0_inv
	v_fma_f64 v[84:85], v[2:3], 2.0, -v[86:87]
	v_fma_f64 v[2:3], v[62:63], 2.0, -v[4:5]
	;; [unrolled: 1-line block ×8, first 2 shown]
	v_sub_nc_u32_e32 v10, 0, v60
	v_sub_nc_u32_e32 v11, 0, v61
	ds_write_b128 v25, v[84:87]
	ds_write_b128 v24, v[88:91]
	;; [unrolled: 1-line block ×7, first 2 shown]
	s_and_saveexec_b32 s1, s0
	s_cbranch_execz .LBB0_21
; %bb.20:
	ds_write_b128 v21, v[2:5]
.LBB0_21:
	s_or_b32 exec_lo, exec_lo, s1
	v_add_nc_u32_e32 v108, v20, v15
	v_add_nc_u32_e32 v109, v24, v14
	;; [unrolled: 1-line block ×9, first 2 shown]
	s_waitcnt lgkmcnt(0)
	s_barrier
	buffer_gl0_inv
	ds_read_b64 v[34:35], v106
	ds_read2_b64 v[18:21], v18 offset0:72 offset1:184
	ds_read_b64 v[38:39], v108
	ds_read2_b64 v[22:25], v15 offset0:40 offset1:152
	ds_read2_b64 v[26:29], v14 offset0:8 offset1:120
	ds_read_b64 v[42:43], v110
	ds_read_b64 v[50:51], v115
	;; [unrolled: 1-line block ×5, first 2 shown]
	ds_read_b64 v[64:65], v106 offset:12096
	v_lshlrev_b32_e32 v124, 1, v100
	v_lshlrev_b32_e32 v123, 1, v105
	;; [unrolled: 1-line block ×7, first 2 shown]
	s_and_saveexec_b32 s1, s0
	s_cbranch_execz .LBB0_23
; %bb.22:
	ds_read_b64 v[2:3], v106 offset:6272
	ds_read_b64 v[4:5], v106 offset:12992
.LBB0_23:
	s_or_b32 exec_lo, exec_lo, s1
	v_and_b32_e32 v66, 1, v100
	v_lshlrev_b32_e32 v117, 1, v104
	v_lshlrev_b32_e32 v0, 4, v66
	v_and_or_b32 v67, 0xfc, v124, v66
	v_and_or_b32 v92, 0x1fc, v123, v66
	;; [unrolled: 1-line block ×4, first 2 shown]
	global_load_dwordx4 v[30:33], v0, s[8:9]
	v_and_or_b32 v95, 0x5fc, v119, v66
	v_and_or_b32 v97, 0x7fc, v118, v66
	s_waitcnt vmcnt(0) lgkmcnt(0)
	s_barrier
	buffer_gl0_inv
	v_lshl_add_u32 v96, v95, 3, 0
	v_lshl_add_u32 v97, v97, 3, 0
	v_mul_f64 v[0:1], v[18:19], v[32:33]
	v_mul_f64 v[82:83], v[28:29], v[32:33]
	;; [unrolled: 1-line block ×8, first 2 shown]
	v_fma_f64 v[0:1], v[72:73], v[30:31], v[0:1]
	v_fma_f64 v[82:83], v[78:79], v[30:31], v[82:83]
	;; [unrolled: 1-line block ×8, first 2 shown]
	v_add_f64 v[88:89], v[12:13], -v[0:1]
	v_add_f64 v[82:83], v[44:45], -v[82:83]
	;; [unrolled: 1-line block ×8, first 2 shown]
	v_fma_f64 v[12:13], v[12:13], 2.0, -v[88:89]
	v_fma_f64 v[90:91], v[44:45], 2.0, -v[82:83]
	;; [unrolled: 1-line block ×8, first 2 shown]
	v_and_or_b32 v57, 0x3fc, v121, v66
	v_lshl_add_u32 v40, v67, 3, 0
	v_lshl_add_u32 v41, v92, 3, 0
	v_lshl_add_u32 v56, v93, 3, 0
	v_lshl_add_u32 v67, v94, 3, 0
	v_lshl_add_u32 v57, v57, 3, 0
	ds_write2_b64 v40, v[12:13], v[88:89] offset1:2
	ds_write2_b64 v41, v[52:53], v[6:7] offset1:2
	;; [unrolled: 1-line block ×7, first 2 shown]
	s_and_saveexec_b32 s1, s0
	s_cbranch_execz .LBB0_25
; %bb.24:
	v_and_or_b32 v6, 0x6fc, v117, v66
	v_lshl_add_u32 v6, v6, 3, 0
	ds_write2_b64 v6, v[44:45], v[0:1] offset1:2
.LBB0_25:
	s_or_b32 exec_lo, exec_lo, s1
	v_add_nc_u32_e32 v6, 0x1800, v106
	v_add_nc_u32_e32 v7, 0x2000, v106
	;; [unrolled: 1-line block ×3, first 2 shown]
	s_waitcnt lgkmcnt(0)
	s_barrier
	buffer_gl0_inv
	ds_read_b64 v[82:83], v106
	ds_read2_b64 v[14:17], v6 offset0:72 offset1:184
	ds_read_b64 v[84:85], v108
	ds_read2_b64 v[10:13], v7 offset0:40 offset1:152
	ds_read2_b64 v[6:9], v8 offset0:8 offset1:120
	ds_read_b64 v[86:87], v110
	ds_read_b64 v[88:89], v115
	;; [unrolled: 1-line block ×5, first 2 shown]
	ds_read_b64 v[46:47], v106 offset:12096
	v_lshl_add_u32 v114, v100, 3, 0
	s_and_saveexec_b32 s1, s0
	s_cbranch_execz .LBB0_27
; %bb.26:
	ds_read_b64 v[44:45], v114 offset:6272
	ds_read_b64 v[0:1], v106 offset:12992
.LBB0_27:
	s_or_b32 exec_lo, exec_lo, s1
	v_mul_f64 v[48:49], v[72:73], v[32:33]
	v_mul_f64 v[52:53], v[74:75], v[32:33]
	;; [unrolled: 1-line block ×8, first 2 shown]
	s_waitcnt lgkmcnt(0)
	s_barrier
	buffer_gl0_inv
	v_fma_f64 v[18:19], v[18:19], v[30:31], -v[48:49]
	v_fma_f64 v[20:21], v[20:21], v[30:31], -v[52:53]
	;; [unrolled: 1-line block ×8, first 2 shown]
	v_add_f64 v[18:19], v[34:35], -v[18:19]
	v_add_f64 v[20:21], v[62:63], -v[20:21]
	;; [unrolled: 1-line block ×8, first 2 shown]
	v_fma_f64 v[4:5], v[34:35], 2.0, -v[18:19]
	v_fma_f64 v[32:33], v[62:63], 2.0, -v[20:21]
	;; [unrolled: 1-line block ×8, first 2 shown]
	ds_write2_b64 v40, v[4:5], v[18:19] offset1:2
	ds_write2_b64 v41, v[32:33], v[20:21] offset1:2
	;; [unrolled: 1-line block ×7, first 2 shown]
	s_and_saveexec_b32 s1, s0
	s_cbranch_execz .LBB0_29
; %bb.28:
	v_and_or_b32 v2, 0x6fc, v117, v66
	v_lshl_add_u32 v2, v2, 3, 0
	ds_write2_b64 v2, v[48:49], v[52:53] offset1:2
.LBB0_29:
	s_or_b32 exec_lo, exec_lo, s1
	v_add_nc_u32_e32 v2, 0x1800, v106
	v_add_nc_u32_e32 v3, 0x2000, v106
	;; [unrolled: 1-line block ×3, first 2 shown]
	s_waitcnt lgkmcnt(0)
	s_barrier
	buffer_gl0_inv
	ds_read_b64 v[54:55], v106
	ds_read2_b64 v[30:33], v2 offset0:72 offset1:184
	ds_read_b64 v[56:57], v108
	ds_read2_b64 v[34:37], v3 offset0:40 offset1:152
	ds_read2_b64 v[26:29], v4 offset0:8 offset1:120
	ds_read_b64 v[58:59], v110
	ds_read_b64 v[60:61], v115
	;; [unrolled: 1-line block ×5, first 2 shown]
	ds_read_b64 v[96:97], v106 offset:12096
	s_and_saveexec_b32 s1, s0
	s_cbranch_execz .LBB0_31
; %bb.30:
	ds_read_b64 v[48:49], v114 offset:6272
	ds_read_b64 v[52:53], v106 offset:12992
.LBB0_31:
	s_or_b32 exec_lo, exec_lo, s1
	v_and_b32_e32 v125, 3, v100
	v_lshlrev_b32_e32 v2, 4, v125
	v_and_or_b32 v126, 0xf8, v124, v125
	v_and_or_b32 v127, 0x1f8, v123, v125
	;; [unrolled: 1-line block ×3, first 2 shown]
	global_load_dwordx4 v[38:41], v2, s[8:9] offset:32
	s_waitcnt vmcnt(0) lgkmcnt(0)
	s_barrier
	buffer_gl0_inv
	v_mul_f64 v[2:3], v[30:31], v[40:41]
	v_mul_f64 v[42:43], v[96:97], v[40:41]
	;; [unrolled: 1-line block ×8, first 2 shown]
	v_fma_f64 v[2:3], v[14:15], v[38:39], v[2:3]
	v_fma_f64 v[42:43], v[46:47], v[38:39], v[42:43]
	;; [unrolled: 1-line block ×8, first 2 shown]
	v_add_f64 v[2:3], v[82:83], -v[2:3]
	v_add_f64 v[68:69], v[92:93], -v[42:43]
	;; [unrolled: 1-line block ×8, first 2 shown]
	v_fma_f64 v[50:51], v[82:83], 2.0, -v[2:3]
	v_fma_f64 v[82:83], v[92:93], 2.0, -v[68:69]
	;; [unrolled: 1-line block ×8, first 2 shown]
	v_and_or_b32 v87, 0x3f8, v121, v125
	v_and_or_b32 v88, 0x7f8, v120, v125
	;; [unrolled: 1-line block ×4, first 2 shown]
	v_lshl_add_u32 v84, v126, 3, 0
	v_lshl_add_u32 v85, v127, 3, 0
	;; [unrolled: 1-line block ×7, first 2 shown]
	ds_write2_b64 v84, v[50:51], v[2:3] offset1:4
	ds_write2_b64 v85, v[70:71], v[4:5] offset1:4
	;; [unrolled: 1-line block ×7, first 2 shown]
	s_and_saveexec_b32 s1, s0
	s_cbranch_execz .LBB0_33
; %bb.32:
	v_and_or_b32 v2, 0x6f8, v117, v125
	v_lshl_add_u32 v2, v2, 3, 0
	ds_write2_b64 v2, v[44:45], v[42:43] offset1:4
.LBB0_33:
	s_or_b32 exec_lo, exec_lo, s1
	v_add_nc_u32_e32 v2, 0x1800, v106
	v_add_nc_u32_e32 v3, 0x2000, v106
	;; [unrolled: 1-line block ×3, first 2 shown]
	s_waitcnt lgkmcnt(0)
	s_barrier
	buffer_gl0_inv
	ds_read_b64 v[68:69], v106
	ds_read2_b64 v[22:25], v2 offset0:72 offset1:184
	ds_read_b64 v[70:71], v108
	ds_read2_b64 v[18:21], v3 offset0:40 offset1:152
	ds_read2_b64 v[2:5], v4 offset0:8 offset1:120
	ds_read_b64 v[72:73], v110
	ds_read_b64 v[74:75], v115
	;; [unrolled: 1-line block ×5, first 2 shown]
	ds_read_b64 v[50:51], v106 offset:12096
	s_and_saveexec_b32 s1, s0
	s_cbranch_execz .LBB0_35
; %bb.34:
	ds_read_b64 v[44:45], v114 offset:6272
	ds_read_b64 v[42:43], v106 offset:12992
.LBB0_35:
	s_or_b32 exec_lo, exec_lo, s1
	v_mul_f64 v[14:15], v[14:15], v[40:41]
	v_mul_f64 v[0:1], v[0:1], v[40:41]
	;; [unrolled: 1-line block ×8, first 2 shown]
	s_waitcnt lgkmcnt(0)
	s_barrier
	buffer_gl0_inv
	v_fma_f64 v[14:15], v[30:31], v[38:39], -v[14:15]
	v_fma_f64 v[0:1], v[52:53], v[38:39], -v[0:1]
	;; [unrolled: 1-line block ×8, first 2 shown]
	v_add_f64 v[14:15], v[54:55], -v[14:15]
	v_add_f64 v[32:33], v[48:49], -v[0:1]
	;; [unrolled: 1-line block ×8, first 2 shown]
	v_fma_f64 v[0:1], v[54:55], 2.0, -v[14:15]
	v_fma_f64 v[30:31], v[48:49], 2.0, -v[32:33]
	;; [unrolled: 1-line block ×8, first 2 shown]
	ds_write2_b64 v84, v[0:1], v[14:15] offset1:4
	ds_write2_b64 v85, v[28:29], v[16:17] offset1:4
	;; [unrolled: 1-line block ×7, first 2 shown]
	s_and_saveexec_b32 s1, s0
	s_cbranch_execz .LBB0_37
; %bb.36:
	v_and_or_b32 v0, 0x6f8, v117, v125
	v_lshl_add_u32 v0, v0, 3, 0
	ds_write2_b64 v0, v[30:31], v[32:33] offset1:4
.LBB0_37:
	s_or_b32 exec_lo, exec_lo, s1
	v_add_nc_u32_e32 v0, 0x1800, v106
	v_add_nc_u32_e32 v1, 0x2000, v106
	;; [unrolled: 1-line block ×3, first 2 shown]
	s_waitcnt lgkmcnt(0)
	s_barrier
	buffer_gl0_inv
	ds_read_b64 v[38:39], v106
	ds_read2_b64 v[14:17], v0 offset0:72 offset1:184
	ds_read_b64 v[40:41], v108
	ds_read2_b64 v[26:29], v1 offset0:40 offset1:152
	ds_read2_b64 v[10:13], v6 offset0:8 offset1:120
	ds_read_b64 v[46:47], v110
	ds_read_b64 v[48:49], v115
	;; [unrolled: 1-line block ×5, first 2 shown]
	ds_read_b64 v[34:35], v106 offset:12096
	s_and_saveexec_b32 s1, s0
	s_cbranch_execz .LBB0_39
; %bb.38:
	ds_read_b64 v[30:31], v114 offset:6272
	ds_read_b64 v[32:33], v106 offset:12992
.LBB0_39:
	s_or_b32 exec_lo, exec_lo, s1
	v_and_b32_e32 v58, 7, v100
	v_lshlrev_b32_e32 v0, 4, v58
	global_load_dwordx4 v[6:9], v0, s[8:9] offset:96
	s_waitcnt vmcnt(0) lgkmcnt(0)
	s_barrier
	buffer_gl0_inv
	v_mul_f64 v[0:1], v[14:15], v[8:9]
	v_mul_f64 v[36:37], v[16:17], v[8:9]
	;; [unrolled: 1-line block ×8, first 2 shown]
	v_fma_f64 v[0:1], v[22:23], v[6:7], v[0:1]
	v_fma_f64 v[36:37], v[24:25], v[6:7], v[36:37]
	;; [unrolled: 1-line block ×7, first 2 shown]
	v_add_f64 v[88:89], v[68:69], -v[0:1]
	v_fma_f64 v[0:1], v[42:43], v[6:7], v[86:87]
	v_add_f64 v[36:37], v[82:83], -v[36:37]
	v_add_f64 v[90:91], v[70:71], -v[59:60]
	v_add_f64 v[92:93], v[72:73], -v[61:62]
	v_add_f64 v[94:95], v[74:75], -v[63:64]
	v_add_f64 v[66:67], v[76:77], -v[65:66]
	v_add_f64 v[84:85], v[78:79], -v[84:85]
	v_and_or_b32 v59, 0xf0, v124, v58
	v_and_or_b32 v60, 0x1f0, v123, v58
	;; [unrolled: 1-line block ×7, first 2 shown]
	v_lshl_add_u32 v59, v59, 3, 0
	v_lshl_add_u32 v60, v60, 3, 0
	;; [unrolled: 1-line block ×7, first 2 shown]
	v_fma_f64 v[68:69], v[68:69], 2.0, -v[88:89]
	v_add_f64 v[0:1], v[44:45], -v[0:1]
	v_fma_f64 v[82:83], v[82:83], 2.0, -v[36:37]
	v_fma_f64 v[70:71], v[70:71], 2.0, -v[90:91]
	v_fma_f64 v[72:73], v[72:73], 2.0, -v[92:93]
	v_fma_f64 v[74:75], v[74:75], 2.0, -v[94:95]
	v_fma_f64 v[76:77], v[76:77], 2.0, -v[66:67]
	v_fma_f64 v[78:79], v[78:79], 2.0, -v[84:85]
	ds_write2_b64 v59, v[68:69], v[88:89] offset1:8
	ds_write2_b64 v60, v[82:83], v[36:37] offset1:8
	;; [unrolled: 1-line block ×7, first 2 shown]
	s_and_saveexec_b32 s1, s0
	s_cbranch_execz .LBB0_41
; %bb.40:
	v_fma_f64 v[36:37], v[44:45], 2.0, -v[0:1]
	v_and_or_b32 v44, 0x6f0, v117, v58
	v_lshl_add_u32 v44, v44, 3, 0
	ds_write2_b64 v44, v[36:37], v[0:1] offset1:8
.LBB0_41:
	s_or_b32 exec_lo, exec_lo, s1
	v_mul_f64 v[22:23], v[22:23], v[8:9]
	v_mul_f64 v[4:5], v[4:5], v[8:9]
	;; [unrolled: 1-line block ×8, first 2 shown]
	s_waitcnt lgkmcnt(0)
	s_barrier
	buffer_gl0_inv
	v_fma_f64 v[14:15], v[14:15], v[6:7], -v[22:23]
	v_fma_f64 v[4:5], v[12:13], v[6:7], -v[4:5]
	;; [unrolled: 1-line block ×7, first 2 shown]
	v_add_nc_u32_e32 v24, 0x2000, v106
	v_add_nc_u32_e32 v26, 0x2800, v106
	;; [unrolled: 1-line block ×4, first 2 shown]
	ds_read_b64 v[22:23], v108
	v_add_f64 v[44:45], v[38:39], -v[14:15]
	v_add_f64 v[72:73], v[52:53], -v[4:5]
	v_fma_f64 v[4:5], v[32:33], v[6:7], -v[8:9]
	ds_read_b64 v[32:33], v110
	v_add_f64 v[50:51], v[56:57], -v[16:17]
	v_add_f64 v[66:67], v[40:41], -v[18:19]
	;; [unrolled: 1-line block ×5, first 2 shown]
	ds_read_b64 v[2:3], v106
	ds_read_b64 v[28:29], v116
	;; [unrolled: 1-line block ×4, first 2 shown]
	ds_read_b64 v[42:43], v106 offset:12544
	ds_read2_b64 v[10:13], v24 offset0:96 offset1:208
	ds_read2_b64 v[6:9], v25 offset0:32 offset1:144
	;; [unrolled: 1-line block ×4, first 2 shown]
	s_waitcnt lgkmcnt(0)
	s_barrier
	buffer_gl0_inv
	v_fma_f64 v[38:39], v[38:39], 2.0, -v[44:45]
	v_fma_f64 v[52:53], v[52:53], 2.0, -v[72:73]
	v_add_f64 v[4:5], v[30:31], -v[4:5]
	v_fma_f64 v[56:57], v[56:57], 2.0, -v[50:51]
	v_fma_f64 v[40:41], v[40:41], 2.0, -v[66:67]
	;; [unrolled: 1-line block ×5, first 2 shown]
	ds_write2_b64 v59, v[38:39], v[44:45] offset1:8
	ds_write2_b64 v60, v[56:57], v[50:51] offset1:8
	ds_write2_b64 v61, v[40:41], v[66:67] offset1:8
	ds_write2_b64 v62, v[46:47], v[68:69] offset1:8
	ds_write2_b64 v63, v[48:49], v[70:71] offset1:8
	ds_write2_b64 v64, v[52:53], v[72:73] offset1:8
	ds_write2_b64 v65, v[54:55], v[74:75] offset1:8
	s_and_saveexec_b32 s1, s0
	s_cbranch_execz .LBB0_43
; %bb.42:
	v_fma_f64 v[30:31], v[30:31], 2.0, -v[4:5]
	v_and_or_b32 v38, 0x6f0, v117, v58
	v_lshl_add_u32 v38, v38, 3, 0
	ds_write2_b64 v38, v[30:31], v[4:5] offset1:8
.LBB0_43:
	s_or_b32 exec_lo, exec_lo, s1
	v_and_b32_e32 v125, 15, v100
	s_waitcnt lgkmcnt(0)
	s_barrier
	buffer_gl0_inv
	s_mov_b32 s4, 0xe8584caa
	v_lshlrev_b32_e32 v30, 5, v125
	s_mov_b32 s5, 0xbfebb67a
	s_mov_b32 s7, 0x3febb67a
	s_mov_b32 s6, s4
	v_cmp_gt_u32_e64 s0, 16, v100
	s_clause 0x1
	global_load_dwordx4 v[38:41], v30, s[8:9] offset:224
	global_load_dwordx4 v[44:47], v30, s[8:9] offset:240
	ds_read_b64 v[68:69], v116
	ds_read2_b64 v[56:59], v24 offset0:96 offset1:208
	ds_read2_b64 v[70:73], v25 offset0:32 offset1:144
	;; [unrolled: 1-line block ×4, first 2 shown]
	ds_read_b64 v[26:27], v108
	ds_read_b64 v[84:85], v106 offset:12544
	ds_read_b64 v[24:25], v115
	s_waitcnt vmcnt(1) lgkmcnt(7)
	v_mul_f64 v[30:31], v[68:69], v[40:41]
	s_waitcnt vmcnt(0) lgkmcnt(6)
	v_mul_f64 v[48:49], v[56:57], v[46:47]
	s_waitcnt lgkmcnt(5)
	v_mul_f64 v[50:51], v[70:71], v[40:41]
	v_mul_f64 v[52:53], v[58:59], v[46:47]
	;; [unrolled: 1-line block ×3, first 2 shown]
	s_waitcnt lgkmcnt(4)
	v_mul_f64 v[64:65], v[86:87], v[46:47]
	s_waitcnt lgkmcnt(3)
	v_mul_f64 v[66:67], v[90:91], v[40:41]
	v_mul_f64 v[74:75], v[88:89], v[46:47]
	;; [unrolled: 1-line block ×3, first 2 shown]
	s_waitcnt lgkmcnt(1)
	v_mul_f64 v[78:79], v[84:85], v[46:47]
	v_mul_f64 v[82:83], v[28:29], v[40:41]
	v_mul_f64 v[94:95], v[10:11], v[46:47]
	v_mul_f64 v[96:97], v[6:7], v[40:41]
	v_mul_f64 v[115:116], v[12:13], v[46:47]
	v_mul_f64 v[117:118], v[8:9], v[40:41]
	v_mul_f64 v[119:120], v[18:19], v[46:47]
	v_mul_f64 v[121:122], v[14:15], v[40:41]
	v_mul_f64 v[123:124], v[20:21], v[46:47]
	v_mul_f64 v[40:41], v[16:17], v[40:41]
	v_mul_f64 v[46:47], v[42:43], v[46:47]
	v_fma_f64 v[54:55], v[28:29], v[38:39], v[30:31]
	v_fma_f64 v[62:63], v[10:11], v[44:45], v[48:49]
	;; [unrolled: 1-line block ×10, first 2 shown]
	v_fma_f64 v[76:77], v[68:69], v[38:39], -v[82:83]
	v_fma_f64 v[68:69], v[56:57], v[44:45], -v[94:95]
	;; [unrolled: 1-line block ×10, first 2 shown]
	v_lshrrev_b32_e32 v59, 4, v105
	v_lshrrev_b32_e32 v58, 4, v100
	v_add_f64 v[38:39], v[2:3], v[54:55]
	v_add_f64 v[12:13], v[54:55], v[62:63]
	;; [unrolled: 1-line block ×10, first 2 shown]
	v_lshrrev_b32_e32 v84, 4, v107
	v_add_f64 v[40:41], v[76:77], -v[68:69]
	v_lshrrev_b32_e32 v85, 4, v113
	v_lshrrev_b32_e32 v88, 4, v112
	v_mul_lo_u32 v59, v59, 48
	v_mul_u32_u24_e32 v58, 48, v58
	v_mul_lo_u32 v89, v84, 48
	v_mul_lo_u32 v90, v85, 48
	v_mul_lo_u32 v88, v88, 48
	v_add_nc_u32_e32 v96, 0x100, v106
	v_add_nc_u32_e32 v97, 0x80, v106
	;; [unrolled: 1-line block ×3, first 2 shown]
	ds_read_b64 v[64:65], v109
	ds_read_b64 v[66:67], v106
	;; [unrolled: 1-line block ×3, first 2 shown]
	v_fma_f64 v[2:3], v[12:13], -0.5, v[2:3]
	v_add_f64 v[12:13], v[78:79], -v[70:71]
	v_fma_f64 v[14:15], v[14:15], -0.5, v[36:37]
	v_add_f64 v[36:37], v[82:83], -v[72:73]
	;; [unrolled: 2-line block ×4, first 2 shown]
	v_fma_f64 v[20:21], v[20:21], -0.5, v[34:35]
	v_add_f64 v[34:35], v[38:39], v[62:63]
	v_add_f64 v[38:39], v[42:43], v[48:49]
	;; [unrolled: 1-line block ×5, first 2 shown]
	s_waitcnt lgkmcnt(0)
	s_barrier
	buffer_gl0_inv
	v_fma_f64 v[56:57], v[40:41], s[4:5], v[2:3]
	v_fma_f64 v[2:3], v[40:41], s[6:7], v[2:3]
	v_fma_f64 v[40:41], v[12:13], s[4:5], v[14:15]
	v_fma_f64 v[12:13], v[12:13], s[6:7], v[14:15]
	v_fma_f64 v[14:15], v[36:37], s[4:5], v[16:17]
	v_fma_f64 v[16:17], v[36:37], s[6:7], v[16:17]
	v_fma_f64 v[36:37], v[22:23], s[4:5], v[18:19]
	v_fma_f64 v[18:19], v[22:23], s[6:7], v[18:19]
	v_fma_f64 v[22:23], v[32:33], s[4:5], v[20:21]
	v_fma_f64 v[84:85], v[32:33], s[6:7], v[20:21]
	v_or_b32_e32 v20, v58, v125
	v_or_b32_e32 v21, v59, v125
	;; [unrolled: 1-line block ×5, first 2 shown]
	v_lshl_add_u32 v118, v20, 3, 0
	v_lshl_add_u32 v117, v21, 3, 0
	;; [unrolled: 1-line block ×5, first 2 shown]
	ds_write2_b64 v118, v[34:35], v[56:57] offset1:16
	ds_write_b64 v118, v[2:3] offset:256
	ds_write2_b64 v117, v[38:39], v[40:41] offset1:16
	ds_write_b64 v117, v[12:13] offset:256
	;; [unrolled: 2-line block ×5, first 2 shown]
	s_waitcnt lgkmcnt(0)
	s_barrier
	buffer_gl0_inv
	ds_read2_b64 v[20:23], v106 offset1:240
	ds_read2st64_b64 v[56:59], v96 offset0:5 offset1:7
	ds_read2st64_b64 v[40:43], v97 offset0:9 offset1:11
	;; [unrolled: 1-line block ×5, first 2 shown]
	ds_read_b64 v[88:89], v109
	ds_read_b64 v[90:91], v106 offset:12416
                                        ; implicit-def: $vgpr14_vgpr15
                                        ; implicit-def: $vgpr18_vgpr19
	s_and_saveexec_b32 s1, s0
	s_cbranch_execz .LBB0_45
; %bb.44:
	v_add_nc_u32_e32 v0, 0xe80, v114
	v_add_nc_u32_e32 v12, 0x1d80, v114
	;; [unrolled: 1-line block ×3, first 2 shown]
	ds_read_b64 v[84:85], v108
	ds_read2_b64 v[0:3], v0 offset1:240
	ds_read2_b64 v[16:19], v12 offset1:240
	;; [unrolled: 1-line block ×3, first 2 shown]
.LBB0_45:
	s_or_b32 exec_lo, exec_lo, s1
	v_add_f64 v[119:120], v[76:77], v[68:69]
	v_add_f64 v[121:122], v[78:79], v[70:71]
	;; [unrolled: 1-line block ×6, first 2 shown]
	v_add_f64 v[54:55], v[54:55], -v[62:63]
	v_add_f64 v[62:63], v[64:65], v[78:79]
	v_add_f64 v[10:11], v[10:11], -v[48:49]
	v_add_f64 v[78:79], v[26:27], v[82:83]
	;; [unrolled: 2-line block ×4, first 2 shown]
	v_add_f64 v[6:7], v[6:7], -v[30:31]
	s_waitcnt lgkmcnt(0)
	s_barrier
	buffer_gl0_inv
	v_fma_f64 v[66:67], v[119:120], -0.5, v[66:67]
	v_fma_f64 v[48:49], v[121:122], -0.5, v[64:65]
	;; [unrolled: 1-line block ×5, first 2 shown]
	v_add_f64 v[30:31], v[76:77], v[68:69]
	v_add_f64 v[52:53], v[62:63], v[70:71]
	;; [unrolled: 1-line block ×5, first 2 shown]
	v_fma_f64 v[68:69], v[54:55], s[6:7], v[66:67]
	v_fma_f64 v[54:55], v[54:55], s[4:5], v[66:67]
	;; [unrolled: 1-line block ×10, first 2 shown]
	ds_write2_b64 v118, v[30:31], v[68:69] offset1:16
	ds_write_b64 v118, v[54:55] offset:256
	ds_write2_b64 v117, v[52:53], v[66:67] offset1:16
	ds_write_b64 v117, v[10:11] offset:256
	;; [unrolled: 2-line block ×5, first 2 shown]
	s_waitcnt lgkmcnt(0)
	s_barrier
	buffer_gl0_inv
	ds_read2_b64 v[8:11], v106 offset1:240
	ds_read2st64_b64 v[76:79], v96 offset0:5 offset1:7
	ds_read2st64_b64 v[68:71], v97 offset0:9 offset1:11
	ds_read2st64_b64 v[64:67], v106 offset0:13 offset1:15
	ds_read2st64_b64 v[60:63], v112 offset0:16 offset1:18
	ds_read2st64_b64 v[72:75], v96 offset0:20 offset1:22
	ds_read_b64 v[86:87], v109
	ds_read_b64 v[94:95], v106 offset:12416
                                        ; implicit-def: $vgpr26_vgpr27
                                        ; implicit-def: $vgpr30_vgpr31
	s_and_saveexec_b32 s1, s0
	s_cbranch_execz .LBB0_47
; %bb.46:
	v_add_nc_u32_e32 v4, 0xe80, v114
	v_add_nc_u32_e32 v24, 0x1d80, v114
	v_add_nc_u32_e32 v25, 0x2c80, v114
	ds_read_b64 v[82:83], v108
	ds_read2_b64 v[4:7], v4 offset1:240
	ds_read2_b64 v[28:31], v24 offset1:240
	;; [unrolled: 1-line block ×3, first 2 shown]
.LBB0_47:
	s_or_b32 exec_lo, exec_lo, s1
	v_and_b32_e32 v48, 0xff, v100
	v_and_b32_e32 v49, 0xff, v105
	v_mov_b32_e32 v50, 6
	s_mov_b32 s6, 0xe976ee23
	s_mov_b32 s4, 0x429ad128
	v_mul_lo_u16 v48, 0xab, v48
	s_mov_b32 s14, 0x37e14327
	s_mov_b32 s10, 0x36b3c0b5
	;; [unrolled: 1-line block ×4, first 2 shown]
	v_lshrrev_b16 v114, 13, v48
	v_mul_lo_u16 v48, 0xab, v49
	s_mov_b32 s15, 0x3fe948f6
	s_mov_b32 s11, 0x3fac98ee
	s_mov_b32 s18, 0xb247c609
	v_mul_lo_u16 v49, v114, 48
	v_lshrrev_b16 v112, 13, v48
	s_mov_b32 s16, 0x5476071b
	s_mov_b32 s26, 0xaaaaaaaa
	;; [unrolled: 1-line block ×3, first 2 shown]
	v_sub_nc_u16 v113, v100, v49
	v_mul_lo_u16 v48, v112, 48
	s_mov_b32 s21, 0x3fd5d0dc
	s_mov_b32 s17, 0x3fe77f67
	;; [unrolled: 1-line block ×3, first 2 shown]
	v_mul_u32_u24_sdwa v49, v113, v50 dst_sel:DWORD dst_unused:UNUSED_PAD src0_sel:BYTE_0 src1_sel:DWORD
	v_sub_nc_u16 v115, v105, v48
	s_mov_b32 s27, 0xbff2aaaa
	s_mov_b32 s20, s18
	;; [unrolled: 1-line block ×3, first 2 shown]
	v_lshlrev_b32_e32 v48, 4, v49
	v_mul_u32_u24_sdwa v49, v115, v50 dst_sel:DWORD dst_unused:UNUSED_PAD src0_sel:BYTE_0 src1_sel:DWORD
	s_mov_b32 s24, 0x37c3f68c
	s_mov_b32 s25, 0xbfdc38aa
	global_load_dwordx4 v[117:120], v48, s[8:9] offset:752
	v_lshlrev_b32_e32 v49, 4, v49
	s_clause 0xa
	global_load_dwordx4 v[121:124], v49, s[8:9] offset:736
	global_load_dwordx4 v[125:128], v48, s[8:9] offset:816
	;; [unrolled: 1-line block ×11, first 2 shown]
	v_mov_b32_e32 v48, 0xaaab
	v_mul_u32_u24_sdwa v48, v107, v48 dst_sel:DWORD dst_unused:UNUSED_PAD src0_sel:WORD_0 src1_sel:DWORD
	v_lshrrev_b32_e32 v48, 21, v48
	v_mul_lo_u16 v48, v48, 48
	v_sub_nc_u16 v48, v107, v48
	v_and_b32_e32 v116, 0xffff, v48
	v_mul_u32_u24_e32 v48, 6, v116
	v_lshlrev_b32_e32 v173, 4, v48
	s_clause 0x2
	global_load_dwordx4 v[165:168], v173, s[8:9] offset:736
	global_load_dwordx4 v[48:51], v173, s[8:9] offset:752
	;; [unrolled: 1-line block ×3, first 2 shown]
	s_waitcnt vmcnt(13) lgkmcnt(6)
	v_mul_f64 v[169:170], v[76:77], v[123:124]
	v_mul_f64 v[123:124], v[56:57], v[123:124]
	;; [unrolled: 1-line block ×4, first 2 shown]
	v_fma_f64 v[56:57], v[56:57], v[121:122], v[169:170]
	global_load_dwordx4 v[169:172], v173, s[8:9] offset:800
	v_fma_f64 v[76:77], v[76:77], v[121:122], -v[123:124]
	global_load_dwordx4 v[121:124], v173, s[8:9] offset:816
	v_fma_f64 v[58:59], v[58:59], v[117:118], v[92:93]
	v_fma_f64 v[78:79], v[78:79], v[117:118], -v[96:97]
	global_load_dwordx4 v[117:120], v173, s[8:9] offset:784
	s_waitcnt vmcnt(15) lgkmcnt(2)
	v_mul_f64 v[92:93], v[74:75], v[127:128]
	v_mul_f64 v[96:97], v[46:47], v[127:128]
	s_waitcnt vmcnt(14)
	v_mul_f64 v[127:128], v[72:73], v[131:132]
	s_waitcnt vmcnt(0) lgkmcnt(0)
	s_barrier
	buffer_gl0_inv
	v_fma_f64 v[46:47], v[46:47], v[125:126], v[92:93]
	v_fma_f64 v[92:93], v[74:75], v[125:126], -v[96:97]
	v_mul_f64 v[74:75], v[44:45], v[131:132]
	v_mul_f64 v[96:97], v[68:69], v[135:136]
	v_mul_f64 v[125:126], v[40:41], v[135:136]
	v_fma_f64 v[44:45], v[44:45], v[129:130], v[127:128]
	v_mul_f64 v[127:128], v[42:43], v[139:140]
	v_mul_f64 v[131:132], v[38:39], v[143:144]
	;; [unrolled: 1-line block ×3, first 2 shown]
	v_fma_f64 v[72:73], v[72:73], v[129:130], -v[74:75]
	v_mul_f64 v[129:130], v[62:63], v[143:144]
	v_mul_f64 v[143:144], v[32:33], v[151:152]
	v_fma_f64 v[40:41], v[40:41], v[133:134], v[96:97]
	v_fma_f64 v[68:69], v[68:69], v[133:134], -v[125:126]
	v_mul_f64 v[96:97], v[10:11], v[155:156]
	v_mul_f64 v[125:126], v[94:95], v[159:160]
	v_fma_f64 v[74:75], v[70:71], v[137:138], -v[127:128]
	v_mul_f64 v[127:128], v[70:71], v[139:140]
	v_mul_f64 v[133:134], v[66:67], v[147:148]
	v_fma_f64 v[70:71], v[62:63], v[141:142], -v[131:132]
	v_mul_f64 v[131:132], v[22:23], v[155:156]
	v_fma_f64 v[66:67], v[66:67], v[145:146], -v[135:136]
	v_mul_f64 v[135:136], v[64:65], v[151:152]
	v_mul_f64 v[139:140], v[90:91], v[159:160]
	v_fma_f64 v[38:39], v[38:39], v[141:142], v[129:130]
	v_mul_f64 v[129:130], v[36:37], v[163:164]
	v_fma_f64 v[62:63], v[64:65], v[149:150], -v[143:144]
	v_fma_f64 v[64:65], v[22:23], v[153:154], v[96:97]
	v_fma_f64 v[22:23], v[90:91], v[157:158], v[125:126]
	v_mul_f64 v[96:97], v[60:61], v[163:164]
	v_fma_f64 v[42:43], v[42:43], v[137:138], v[127:128]
	v_fma_f64 v[34:35], v[34:35], v[145:146], v[133:134]
	v_add_f64 v[127:128], v[40:41], v[44:45]
	v_fma_f64 v[90:91], v[10:11], v[153:154], -v[131:132]
	v_add_f64 v[131:132], v[66:67], -v[74:75]
	v_fma_f64 v[32:33], v[32:33], v[149:150], v[135:136]
	v_add_f64 v[133:134], v[68:69], -v[72:73]
	v_add_f64 v[125:126], v[58:59], v[38:39]
	v_fma_f64 v[10:11], v[60:61], v[161:162], -v[129:130]
	v_fma_f64 v[60:61], v[94:95], v[157:158], -v[139:140]
	v_add_f64 v[129:130], v[78:79], -v[70:71]
	v_add_f64 v[94:95], v[64:65], v[46:47]
	v_fma_f64 v[36:37], v[36:37], v[161:162], v[96:97]
	v_add_f64 v[96:97], v[56:57], v[22:23]
	v_add_f64 v[139:140], v[42:43], v[34:35]
	v_add_f64 v[135:136], v[90:91], -v[92:93]
	v_add_f64 v[137:138], v[10:11], -v[62:63]
	;; [unrolled: 1-line block ×4, first 2 shown]
	v_add_f64 v[143:144], v[125:126], v[94:95]
	v_add_f64 v[145:146], v[32:33], v[36:37]
	;; [unrolled: 1-line block ×3, first 2 shown]
	v_add_f64 v[155:156], v[94:95], -v[139:140]
	v_add_f64 v[94:95], v[125:126], -v[94:95]
	;; [unrolled: 1-line block ×3, first 2 shown]
	v_add_f64 v[129:130], v[131:132], v[129:130]
	v_add_f64 v[131:132], v[135:136], -v[131:132]
	v_add_f64 v[153:154], v[137:138], -v[133:134]
	;; [unrolled: 1-line block ×3, first 2 shown]
	v_add_f64 v[133:134], v[137:138], v[133:134]
	v_add_f64 v[143:144], v[139:140], v[143:144]
	v_add_f64 v[139:140], v[139:140], -v[125:126]
	v_add_f64 v[159:160], v[96:97], -v[145:146]
	v_add_f64 v[147:148], v[145:146], v[147:148]
	v_add_f64 v[145:146], v[145:146], -v[127:128]
	v_mul_f64 v[149:150], v[149:150], s[6:7]
	v_mul_f64 v[161:162], v[151:152], s[4:5]
	v_add_f64 v[137:138], v[141:142], -v[137:138]
	v_mul_f64 v[155:156], v[155:156], s[14:15]
	v_add_f64 v[96:97], v[127:128], -v[96:97]
	v_mul_f64 v[127:128], v[4:5], v[167:168]
	v_add_f64 v[129:130], v[129:130], v[135:136]
	v_mul_f64 v[135:136], v[0:1], v[167:168]
	v_mul_f64 v[153:154], v[153:154], s[6:7]
	;; [unrolled: 1-line block ×3, first 2 shown]
	v_add_f64 v[163:164], v[20:21], v[143:144]
	v_mul_f64 v[20:21], v[139:140], s[10:11]
	v_mul_f64 v[159:160], v[159:160], s[14:15]
	v_add_f64 v[167:168], v[88:89], v[147:148]
	v_add_f64 v[88:89], v[133:134], v[141:142]
	v_mul_f64 v[133:134], v[145:146], s[10:11]
	v_fma_f64 v[141:142], v[151:152], s[4:5], -v[149:150]
	v_fma_f64 v[149:150], v[131:132], s[18:19], v[149:150]
	v_fma_f64 v[131:132], v[131:132], s[20:21], -v[161:162]
	v_mul_f64 v[161:162], v[28:29], v[54:55]
	v_fma_f64 v[151:152], v[157:158], s[4:5], -v[153:154]
	v_fma_f64 v[153:154], v[137:138], s[18:19], v[153:154]
	v_mul_f64 v[157:158], v[6:7], v[50:51]
	v_fma_f64 v[125:126], v[137:138], s[20:21], -v[125:126]
	v_fma_f64 v[137:138], v[139:140], s[10:11], v[155:156]
	v_fma_f64 v[139:140], v[143:144], s[26:27], v[163:164]
	v_fma_f64 v[143:144], v[94:95], s[22:23], -v[155:156]
	v_fma_f64 v[94:95], v[94:95], s[16:17], -v[20:21]
	v_fma_f64 v[20:21], v[0:1], v[165:166], v[127:128]
	v_mul_f64 v[0:1], v[16:17], v[54:55]
	v_fma_f64 v[54:55], v[145:146], s[10:11], v[159:160]
	v_fma_f64 v[127:128], v[147:148], s[26:27], v[167:168]
	v_mul_f64 v[155:156], v[2:3], v[50:51]
	v_fma_f64 v[50:51], v[4:5], v[165:166], -v[135:136]
	v_fma_f64 v[135:136], v[96:97], s[22:23], -v[159:160]
	;; [unrolled: 1-line block ×3, first 2 shown]
	v_fma_f64 v[133:134], v[129:130], s[24:25], v[149:150]
	v_fma_f64 v[141:142], v[129:130], s[24:25], v[141:142]
	;; [unrolled: 1-line block ×3, first 2 shown]
	v_mov_b32_e32 v159, 0xa80
	v_fma_f64 v[147:148], v[88:89], s[24:25], v[151:152]
	v_fma_f64 v[145:146], v[88:89], s[24:25], v[153:154]
	;; [unrolled: 1-line block ×3, first 2 shown]
	v_add_f64 v[137:138], v[137:138], v[139:140]
	v_add_f64 v[143:144], v[143:144], v[139:140]
	;; [unrolled: 1-line block ×4, first 2 shown]
	v_fma_f64 v[54:55], v[2:3], v[48:49], v[157:158]
	v_fma_f64 v[88:89], v[6:7], v[48:49], -v[155:156]
	v_add_f64 v[135:136], v[135:136], v[127:128]
	v_add_f64 v[127:128], v[96:97], v[127:128]
	v_fma_f64 v[48:49], v[16:17], v[52:53], v[161:162]
	v_fma_f64 v[52:53], v[28:29], v[52:53], -v[0:1]
	v_mov_b32_e32 v157, 3
	v_add_f64 v[0:1], v[133:134], v[137:138]
	v_add_f64 v[16:17], v[137:138], -v[133:134]
	v_add_f64 v[6:7], v[139:140], -v[141:142]
	v_mul_f64 v[131:132], v[24:25], v[171:172]
	v_mul_f64 v[149:150], v[12:13], v[171:172]
	;; [unrolled: 1-line block ×4, first 2 shown]
	v_add_f64 v[123:124], v[147:148], v[127:128]
	v_mul_f64 v[4:5], v[30:31], v[119:120]
	v_mul_f64 v[119:120], v[18:19], v[119:120]
	v_fma_f64 v[94:95], v[12:13], v[169:170], v[131:132]
	v_fma_f64 v[96:97], v[24:25], v[169:170], -v[149:150]
	v_fma_f64 v[24:25], v[14:15], v[121:122], v[151:152]
	v_fma_f64 v[26:27], v[26:27], v[121:122], -v[2:3]
	v_add_f64 v[12:13], v[141:142], v[139:140]
	v_fma_f64 v[28:29], v[18:19], v[117:118], v[4:5]
	v_fma_f64 v[30:31], v[30:31], v[117:118], -v[119:120]
	v_add_f64 v[4:5], v[129:130], v[143:144]
	v_add_f64 v[14:15], v[143:144], -v[129:130]
	v_add_f64 v[18:19], v[145:146], v[153:154]
	v_add_f64 v[117:118], v[125:126], v[135:136]
	v_add_f64 v[119:120], v[127:128], -v[147:148]
	v_add_f64 v[125:126], v[135:136], -v[125:126]
	;; [unrolled: 1-line block ×3, first 2 shown]
	v_mul_u32_u24_sdwa v2, v114, v159 dst_sel:DWORD dst_unused:UNUSED_PAD src0_sel:WORD_0 src1_sel:DWORD
	v_mul_u32_u24_sdwa v3, v112, v159 dst_sel:DWORD dst_unused:UNUSED_PAD src0_sel:WORD_0 src1_sel:DWORD
	v_lshlrev_b32_sdwa v112, v157, v113 dst_sel:DWORD dst_unused:UNUSED_PAD src0_sel:DWORD src1_sel:BYTE_0
	v_lshlrev_b32_sdwa v113, v157, v115 dst_sel:DWORD dst_unused:UNUSED_PAD src0_sel:DWORD src1_sel:BYTE_0
	v_add3_u32 v114, 0, v2, v112
	v_add3_u32 v113, 0, v3, v113
	v_lshl_add_u32 v112, v116, 3, 0
	ds_write2_b64 v114, v[163:164], v[0:1] offset1:48
	ds_write2_b64 v114, v[4:5], v[6:7] offset0:96 offset1:144
	ds_write2_b64 v114, v[12:13], v[14:15] offset0:192 offset1:240
	ds_write_b64 v114, v[16:17] offset:2304
	ds_write2_b64 v113, v[167:168], v[18:19] offset1:48
	ds_write2_b64 v113, v[117:118], v[119:120] offset0:96 offset1:144
	ds_write2_b64 v113, v[123:124], v[125:126] offset0:192 offset1:240
	ds_write_b64 v113, v[127:128] offset:2304
	s_and_saveexec_b32 s1, s0
	s_cbranch_execz .LBB0_49
; %bb.48:
	v_add_f64 v[0:1], v[20:21], v[24:25]
	v_add_f64 v[2:3], v[54:55], v[94:95]
	v_add_f64 v[4:5], v[30:31], -v[52:53]
	v_add_f64 v[6:7], v[88:89], -v[96:97]
	v_add_f64 v[12:13], v[48:49], v[28:29]
	v_add_f64 v[14:15], v[50:51], -v[26:27]
	v_add_f64 v[16:17], v[2:3], v[0:1]
	v_add_f64 v[18:19], v[4:5], -v[6:7]
	v_add_f64 v[115:116], v[0:1], -v[12:13]
	;; [unrolled: 1-line block ×4, first 2 shown]
	v_add_f64 v[4:5], v[4:5], v[6:7]
	v_add_f64 v[0:1], v[2:3], -v[0:1]
	v_add_f64 v[16:17], v[12:13], v[16:17]
	v_add_f64 v[12:13], v[12:13], -v[2:3]
	v_mul_f64 v[2:3], v[18:19], s[6:7]
	v_mul_f64 v[6:7], v[115:116], s[14:15]
	;; [unrolled: 1-line block ×3, first 2 shown]
	v_add_f64 v[4:5], v[4:5], v[14:15]
	v_add_f64 v[84:85], v[84:85], v[16:17]
	v_mul_f64 v[115:116], v[12:13], s[10:11]
	v_fma_f64 v[14:15], v[119:120], s[18:19], v[2:3]
	v_fma_f64 v[121:122], v[0:1], s[22:23], -v[6:7]
	v_fma_f64 v[6:7], v[12:13], s[10:11], v[6:7]
	v_fma_f64 v[18:19], v[119:120], s[20:21], -v[18:19]
	v_fma_f64 v[2:3], v[117:118], s[4:5], -v[2:3]
	v_fma_f64 v[16:17], v[16:17], s[26:27], v[84:85]
	v_fma_f64 v[0:1], v[0:1], s[16:17], -v[115:116]
	v_fma_f64 v[12:13], v[4:5], s[24:25], v[14:15]
	v_fma_f64 v[14:15], v[4:5], s[24:25], v[18:19]
	;; [unrolled: 1-line block ×3, first 2 shown]
	v_add_f64 v[6:7], v[6:7], v[16:17]
	v_add_f64 v[4:5], v[121:122], v[16:17]
	;; [unrolled: 1-line block ×4, first 2 shown]
	v_add_f64 v[16:17], v[4:5], -v[14:15]
	v_add_f64 v[18:19], v[0:1], -v[2:3]
	v_add_f64 v[4:5], v[14:15], v[4:5]
	v_add_f64 v[0:1], v[2:3], v[0:1]
	v_add_f64 v[2:3], v[6:7], -v[12:13]
	v_add_nc_u32_e32 v6, 0x2800, v112
	v_add_nc_u32_e32 v7, 0x3000, v112
	ds_write2_b64 v6, v[84:85], v[115:116] offset0:64 offset1:112
	ds_write2_b64 v6, v[4:5], v[18:19] offset0:160 offset1:208
	ds_write2_b64 v7, v[0:1], v[16:17] offset1:48
	ds_write_b64 v112, v[2:3] offset:13056
.LBB0_49:
	s_or_b32 exec_lo, exec_lo, s1
	v_add_f64 v[0:1], v[90:91], v[92:93]
	v_add_f64 v[2:3], v[78:79], v[70:71]
	;; [unrolled: 1-line block ×5, first 2 shown]
	v_add_f64 v[14:15], v[58:59], -v[38:39]
	v_add_f64 v[16:17], v[34:35], -v[42:43]
	v_add_f64 v[18:19], v[64:65], -v[46:47]
	v_add_f64 v[38:39], v[40:41], -v[44:45]
	v_add_f64 v[10:11], v[62:63], v[10:11]
	v_add_f64 v[32:33], v[36:37], -v[32:33]
	v_add_f64 v[22:23], v[56:57], -v[22:23]
	v_add_nc_u32_e32 v66, 0x2800, v106
	v_add_nc_u32_e32 v67, 0x1100, v106
	;; [unrolled: 1-line block ×3, first 2 shown]
	s_waitcnt lgkmcnt(0)
	s_barrier
	buffer_gl0_inv
	v_add_f64 v[34:35], v[2:3], v[0:1]
	v_add_f64 v[36:37], v[6:7], v[4:5]
	v_add_f64 v[40:41], v[0:1], -v[12:13]
	v_add_f64 v[42:43], v[12:13], -v[2:3]
	;; [unrolled: 1-line block ×5, first 2 shown]
	v_add_f64 v[2:3], v[16:17], v[14:15]
	v_add_f64 v[56:57], v[32:33], -v[38:39]
	v_add_f64 v[58:59], v[38:39], -v[22:23]
	;; [unrolled: 1-line block ×3, first 2 shown]
	v_add_f64 v[16:17], v[32:33], v[38:39]
	v_add_f64 v[12:13], v[12:13], v[34:35]
	v_add_f64 v[34:35], v[4:5], -v[10:11]
	v_add_f64 v[36:37], v[10:11], v[36:37]
	v_add_f64 v[10:11], v[10:11], -v[6:7]
	v_mul_f64 v[38:39], v[40:41], s[14:15]
	v_mul_f64 v[40:41], v[42:43], s[10:11]
	;; [unrolled: 1-line block ×4, first 2 shown]
	v_add_f64 v[4:5], v[6:7], -v[4:5]
	v_add_f64 v[2:3], v[2:3], v[18:19]
	v_add_f64 v[16:17], v[16:17], v[22:23]
	;; [unrolled: 1-line block ×3, first 2 shown]
	v_add_f64 v[8:9], v[22:23], -v[32:33]
	v_mul_f64 v[32:33], v[34:35], s[14:15]
	v_mul_f64 v[34:35], v[56:57], s[6:7]
	;; [unrolled: 1-line block ×3, first 2 shown]
	v_add_f64 v[64:65], v[86:87], v[36:37]
	v_mul_f64 v[6:7], v[10:11], s[10:11]
	v_fma_f64 v[18:19], v[42:43], s[10:11], v[38:39]
	v_fma_f64 v[22:23], v[0:1], s[16:17], -v[40:41]
	v_fma_f64 v[40:41], v[14:15], s[18:19], v[44:45]
	v_fma_f64 v[42:43], v[46:47], s[4:5], -v[44:45]
	v_fma_f64 v[14:15], v[14:15], s[20:21], -v[60:61]
	;; [unrolled: 1-line block ×3, first 2 shown]
	v_fma_f64 v[12:13], v[12:13], s[26:27], v[62:63]
	v_fma_f64 v[10:11], v[10:11], s[10:11], v[32:33]
	;; [unrolled: 1-line block ×3, first 2 shown]
	v_fma_f64 v[34:35], v[58:59], s[4:5], -v[34:35]
	v_fma_f64 v[8:9], v[8:9], s[20:21], -v[56:57]
	v_fma_f64 v[36:37], v[36:37], s[26:27], v[64:65]
	v_fma_f64 v[32:33], v[4:5], s[22:23], -v[32:33]
	v_fma_f64 v[4:5], v[4:5], s[16:17], -v[6:7]
	v_fma_f64 v[40:41], v[2:3], s[24:25], v[40:41]
	v_fma_f64 v[42:43], v[2:3], s[24:25], v[42:43]
	;; [unrolled: 1-line block ×3, first 2 shown]
	v_add_f64 v[18:19], v[18:19], v[12:13]
	v_add_f64 v[44:45], v[0:1], v[12:13]
	;; [unrolled: 1-line block ×3, first 2 shown]
	v_fma_f64 v[22:23], v[16:17], s[24:25], v[38:39]
	v_fma_f64 v[34:35], v[16:17], s[24:25], v[34:35]
	v_fma_f64 v[8:9], v[16:17], s[24:25], v[8:9]
	v_add_f64 v[10:11], v[10:11], v[36:37]
	v_add_f64 v[16:17], v[32:33], v[36:37]
	;; [unrolled: 1-line block ×3, first 2 shown]
	v_add_nc_u32_e32 v4, 0x1800, v106
	ds_read2st64_b64 v[0:3], v106 offset1:7
	ds_read_b64 v[76:77], v111
	ds_read_b64 v[78:79], v110
	;; [unrolled: 1-line block ×4, first 2 shown]
	ds_read_b64 v[84:85], v106 offset:12544
	ds_read2_b64 v[4:7], v4 offset0:128 offset1:240
	v_add_f64 v[36:37], v[18:19], -v[40:41]
	v_add_f64 v[38:39], v[44:45], -v[14:15]
	v_add_f64 v[46:47], v[42:43], v[12:13]
	v_add_f64 v[42:43], v[12:13], -v[42:43]
	v_add_f64 v[44:45], v[14:15], v[44:45]
	v_add_f64 v[40:41], v[40:41], v[18:19]
	v_add_f64 v[56:57], v[10:11], -v[22:23]
	v_add_f64 v[58:59], v[16:17], -v[8:9]
	v_add_f64 v[60:61], v[34:35], v[32:33]
	v_add_f64 v[32:33], v[32:33], -v[34:35]
	v_add_f64 v[34:35], v[8:9], v[16:17]
	v_add_f64 v[22:23], v[22:23], v[10:11]
	ds_read2_b64 v[8:11], v66 offset0:64 offset1:176
	ds_read2_b64 v[16:19], v67 offset0:16 offset1:240
	;; [unrolled: 1-line block ×3, first 2 shown]
	s_waitcnt lgkmcnt(0)
	s_barrier
	buffer_gl0_inv
	ds_write2_b64 v114, v[62:63], v[36:37] offset1:48
	ds_write2_b64 v114, v[38:39], v[46:47] offset0:96 offset1:144
	ds_write2_b64 v114, v[42:43], v[44:45] offset0:192 offset1:240
	ds_write_b64 v114, v[40:41] offset:2304
	ds_write2_b64 v113, v[64:65], v[56:57] offset1:48
	ds_write2_b64 v113, v[58:59], v[60:61] offset0:96 offset1:144
	ds_write2_b64 v113, v[32:33], v[34:35] offset0:192 offset1:240
	ds_write_b64 v113, v[22:23] offset:2304
	s_and_saveexec_b32 s1, s0
	s_cbranch_execz .LBB0_51
; %bb.50:
	v_add_f64 v[22:23], v[50:51], v[26:27]
	v_add_f64 v[26:27], v[88:89], v[96:97]
	;; [unrolled: 1-line block ×3, first 2 shown]
	v_add_f64 v[32:33], v[54:55], -v[94:95]
	v_add_f64 v[28:29], v[28:29], -v[48:49]
	;; [unrolled: 1-line block ×3, first 2 shown]
	s_mov_b32 s4, 0x37e14327
	s_mov_b32 s5, 0x3fe948f6
	;; [unrolled: 1-line block ×10, first 2 shown]
	v_add_f64 v[24:25], v[26:27], v[22:23]
	v_add_f64 v[34:35], v[22:23], -v[30:31]
	v_add_f64 v[36:37], v[30:31], -v[26:27]
	;; [unrolled: 1-line block ×5, first 2 shown]
	v_add_f64 v[26:27], v[28:29], v[32:33]
	v_add_f64 v[28:29], v[20:21], -v[28:29]
	v_add_f64 v[24:25], v[30:31], v[24:25]
	v_mul_f64 v[30:31], v[34:35], s[4:5]
	s_mov_b32 s4, 0x429ad128
	v_mul_f64 v[32:33], v[36:37], s[6:7]
	v_mul_f64 v[34:35], v[38:39], s[10:11]
	s_mov_b32 s5, 0xbfebfeb5
	s_mov_b32 s10, 0xaaaaaaaa
	v_mul_f64 v[38:39], v[40:41], s[4:5]
	s_mov_b32 s11, 0xbff2aaaa
	v_add_f64 v[20:21], v[26:27], v[20:21]
	v_add_f64 v[42:43], v[82:83], v[24:25]
	v_fma_f64 v[26:27], v[36:37], s[6:7], v[30:31]
	v_fma_f64 v[32:33], v[22:23], s[14:15], -v[32:33]
	s_mov_b32 s15, 0xbfe77f67
	v_fma_f64 v[36:37], v[28:29], s[16:17], v[34:35]
	s_mov_b32 s17, 0x3fd5d0dc
	v_fma_f64 v[34:35], v[40:41], s[4:5], -v[34:35]
	v_fma_f64 v[28:29], v[28:29], s[16:17], -v[38:39]
	;; [unrolled: 1-line block ×3, first 2 shown]
	s_mov_b32 s4, 0x37c3f68c
	s_mov_b32 s5, 0xbfdc38aa
	v_fma_f64 v[24:25], v[24:25], s[10:11], v[42:43]
	v_fma_f64 v[30:31], v[20:21], s[4:5], v[36:37]
	;; [unrolled: 1-line block ×4, first 2 shown]
	v_add_f64 v[26:27], v[26:27], v[24:25]
	v_add_f64 v[22:23], v[22:23], v[24:25]
	;; [unrolled: 1-line block ×3, first 2 shown]
	v_add_f64 v[28:29], v[26:27], -v[30:31]
	v_add_f64 v[32:33], v[22:23], -v[20:21]
	v_add_f64 v[36:37], v[34:35], v[24:25]
	v_add_f64 v[24:25], v[24:25], -v[34:35]
	v_add_f64 v[20:21], v[20:21], v[22:23]
	v_add_f64 v[22:23], v[30:31], v[26:27]
	v_add_nc_u32_e32 v26, 0x2800, v112
	v_add_nc_u32_e32 v27, 0x3000, v112
	ds_write2_b64 v26, v[42:43], v[28:29] offset0:64 offset1:112
	ds_write2_b64 v26, v[32:33], v[36:37] offset0:160 offset1:208
	ds_write2_b64 v27, v[24:25], v[20:21] offset1:48
	ds_write_b64 v112, v[22:23] offset:13056
.LBB0_51:
	s_or_b32 exec_lo, exec_lo, s1
	s_waitcnt lgkmcnt(0)
	s_barrier
	buffer_gl0_inv
	s_and_saveexec_b32 s0, vcc_lo
	s_cbranch_execz .LBB0_53
; %bb.52:
	v_lshlrev_b32_e32 v20, 2, v107
	v_mov_b32_e32 v21, 0
	v_add_nc_u32_e32 v143, 0x3f0, v100
	v_add_nc_u32_e32 v146, 0x5b0, v100
	v_lshrrev_b32_e32 v137, 4, v98
	v_mad_u64_u32 v[117:118], null, s2, v100, 0
	v_lshlrev_b64 v[22:23], 4, v[20:21]
	v_lshlrev_b32_e32 v20, 2, v105
	v_mad_u64_u32 v[119:120], null, s2, v102, 0
	v_mad_u64_u32 v[121:122], null, s2, v103, 0
	v_lshlrev_b64 v[24:25], 4, v[20:21]
	v_add_co_u32 v26, vcc_lo, s8, v22
	v_add_co_ci_u32_e32 v27, vcc_lo, s9, v23, vcc_lo
	v_lshlrev_b32_e32 v20, 2, v100
	v_add_co_u32 v34, vcc_lo, s8, v24
	v_add_co_ci_u32_e32 v35, vcc_lo, s9, v25, vcc_lo
	v_add_co_u32 v22, vcc_lo, 0x1000, v26
	v_add_co_ci_u32_e32 v23, vcc_lo, 0, v27, vcc_lo
	;; [unrolled: 2-line block ×4, first 2 shown]
	v_lshlrev_b64 v[20:21], 4, v[20:21]
	s_clause 0x5
	global_load_dwordx4 v[28:31], v[36:37], off offset:16
	global_load_dwordx4 v[24:27], v[36:37], off offset:32
	;; [unrolled: 1-line block ×6, first 2 shown]
	v_add_co_u32 v22, vcc_lo, 0x1000, v34
	v_add_co_ci_u32_e32 v23, vcc_lo, 0, v35, vcc_lo
	v_add_co_u32 v56, vcc_lo, s8, v20
	v_add_co_ci_u32_e32 v57, vcc_lo, s9, v21, vcc_lo
	s_clause 0x1
	global_load_dwordx4 v[32:35], v[22:23], off offset:1248
	global_load_dwordx4 v[36:39], v[36:37], off offset:48
	v_add_co_u32 v20, vcc_lo, 0x14e0, v56
	v_add_co_ci_u32_e32 v21, vcc_lo, 0, v57, vcc_lo
	v_add_co_u32 v22, vcc_lo, 0x1000, v56
	v_add_co_ci_u32_e32 v23, vcc_lo, 0, v57, vcc_lo
	s_clause 0x3
	global_load_dwordx4 v[64:67], v[20:21], off offset:16
	global_load_dwordx4 v[56:59], v[22:23], off offset:1248
	;; [unrolled: 1-line block ×4, first 2 shown]
	v_mad_u64_u32 v[123:124], null, s2, v99, 0
	v_mad_u64_u32 v[125:126], null, s2, v101, 0
	;; [unrolled: 1-line block ×5, first 2 shown]
	v_mul_hi_u32 v147, 0x18618619, v137
	v_add_nc_u32_e32 v144, 0x540, v100
	v_mad_u64_u32 v[137:138], null, s3, v100, v[118:119]
	v_mad_u64_u32 v[138:139], null, s3, v102, v[120:121]
	v_add_nc_u32_e32 v145, 0x460, v100
	v_mad_u64_u32 v[131:132], null, s2, v144, 0
	v_mad_u64_u32 v[139:140], null, s3, v99, v[124:125]
	v_mov_b32_e32 v100, v130
	v_mad_u64_u32 v[140:141], null, s3, v101, v[126:127]
	v_mov_b32_e32 v101, v136
	v_lshrrev_b32_e32 v118, 1, v147
	v_mad_u64_u32 v[133:134], null, s2, v145, 0
	v_mad_u64_u32 v[102:103], null, s3, v103, v[122:123]
	;; [unrolled: 1-line block ×4, first 2 shown]
	v_mad_u32_u24 v143, 0x540, v118, v98
	v_mov_b32_e32 v118, v137
	v_mov_b32_e32 v103, v132
	;; [unrolled: 1-line block ×3, first 2 shown]
	v_add_co_u32 v80, vcc_lo, s12, v80
	v_lshlrev_b64 v[117:118], 4, v[117:118]
	v_mov_b32_e32 v99, v134
	v_mad_u64_u32 v[103:104], null, s3, v144, v[103:104]
	v_mov_b32_e32 v122, v102
	v_add_co_ci_u32_e32 v81, vcc_lo, s13, v81, vcc_lo
	v_lshlrev_b64 v[119:120], 4, v[119:120]
	v_mov_b32_e32 v124, v139
	v_mad_u64_u32 v[99:100], null, s3, v145, v[99:100]
	v_lshlrev_b64 v[121:122], 4, v[121:122]
	v_add_co_u32 v117, vcc_lo, v80, v117
	v_mad_u64_u32 v[100:101], null, s3, v146, v[101:102]
	v_mov_b32_e32 v126, v140
	v_mov_b32_e32 v128, v141
	v_mad_u64_u32 v[101:102], null, s2, v143, 0
	v_add_nc_u32_e32 v145, 0x2a0, v143
	v_add_co_ci_u32_e32 v118, vcc_lo, v81, v118, vcc_lo
	v_mov_b32_e32 v132, v103
	v_lshlrev_b64 v[103:104], 4, v[123:124]
	v_add_co_u32 v119, vcc_lo, v80, v119
	v_add_nc_u32_e32 v146, 0x3f0, v143
	v_add_nc_u32_e32 v147, 0x540, v143
	v_add_co_ci_u32_e32 v120, vcc_lo, v81, v120, vcc_lo
	v_add_nc_u32_e32 v94, 0x1800, v106
	v_lshlrev_b64 v[123:124], 4, v[125:126]
	v_add_co_u32 v121, vcc_lo, v80, v121
	v_add_nc_u32_e32 v105, 0x1100, v106
	v_add_nc_u32_e32 v144, 0x150, v143
	v_mov_b32_e32 v130, v142
	v_lshlrev_b64 v[125:126], 4, v[127:128]
	v_mad_u64_u32 v[127:128], null, s2, v145, 0
	v_add_nc_u32_e32 v112, 0x2000, v106
	v_add_co_ci_u32_e32 v122, vcc_lo, v81, v122, vcc_lo
	v_add_nc_u32_e32 v113, 0x2800, v106
	v_mad_u64_u32 v[137:138], null, s2, v146, 0
	v_add_co_u32 v103, vcc_lo, v80, v103
	v_mov_b32_e32 v136, v100
	v_mad_u64_u32 v[139:140], null, s2, v147, 0
	v_mov_b32_e32 v100, v102
	ds_read_b64 v[88:89], v106 offset:12544
	ds_read2st64_b64 v[20:23], v106 offset1:7
	ds_read_b64 v[90:91], v110
	ds_read_b64 v[86:87], v108
	;; [unrolled: 1-line block ×4, first 2 shown]
	ds_read2_b64 v[94:97], v94 offset0:128 offset1:240
	ds_read2_b64 v[105:108], v105 offset0:16 offset1:240
	;; [unrolled: 1-line block ×4, first 2 shown]
	v_add_co_ci_u32_e32 v104, vcc_lo, v81, v104, vcc_lo
	v_mov_b32_e32 v134, v99
	v_mad_u64_u32 v[98:99], null, s2, v144, 0
	v_lshlrev_b64 v[129:130], 4, v[129:130]
	v_add_co_u32 v123, vcc_lo, v80, v123
	v_add_co_ci_u32_e32 v124, vcc_lo, v81, v124, vcc_lo
	v_add_co_u32 v125, vcc_lo, v80, v125
	v_mad_u64_u32 v[141:142], null, s3, v143, v[100:101]
	v_mov_b32_e32 v100, v128
	v_add_co_ci_u32_e32 v126, vcc_lo, v81, v126, vcc_lo
	v_mov_b32_e32 v102, v138
	v_mov_b32_e32 v128, v140
	v_add_co_u32 v129, vcc_lo, v80, v129
	v_mad_u64_u32 v[142:143], null, s3, v144, v[99:100]
	v_mad_u64_u32 v[143:144], null, s3, v145, v[100:101]
	;; [unrolled: 1-line block ×4, first 2 shown]
	v_mov_b32_e32 v102, v141
	v_mov_b32_e32 v99, v142
	;; [unrolled: 1-line block ×3, first 2 shown]
	v_lshlrev_b64 v[131:132], 4, v[131:132]
	v_mov_b32_e32 v138, v144
	v_lshlrev_b64 v[133:134], 4, v[133:134]
	v_mov_b32_e32 v140, v145
	v_add_co_ci_u32_e32 v130, vcc_lo, v81, v130, vcc_lo
	v_lshlrev_b64 v[135:136], 4, v[135:136]
	v_add_co_u32 v131, vcc_lo, v80, v131
	v_add_co_ci_u32_e32 v132, vcc_lo, v81, v132, vcc_lo
	v_add_co_u32 v133, vcc_lo, v80, v133
	v_lshlrev_b64 v[100:101], 4, v[101:102]
	v_add_co_ci_u32_e32 v134, vcc_lo, v81, v134, vcc_lo
	v_add_co_u32 v135, vcc_lo, v80, v135
	v_lshlrev_b64 v[98:99], 4, v[98:99]
	v_add_co_ci_u32_e32 v136, vcc_lo, v81, v136, vcc_lo
	v_lshlrev_b64 v[127:128], 4, v[127:128]
	v_add_co_u32 v100, vcc_lo, v80, v100
	v_add_co_ci_u32_e32 v101, vcc_lo, v81, v101, vcc_lo
	v_add_co_u32 v98, vcc_lo, v80, v98
	v_add_co_ci_u32_e32 v99, vcc_lo, v81, v99, vcc_lo
	s_mov_b32 s0, 0x134454ff
	s_mov_b32 s1, 0x3fee6f0e
	;; [unrolled: 1-line block ×10, first 2 shown]
	v_lshlrev_b64 v[137:138], 4, v[137:138]
	v_lshlrev_b64 v[139:140], 4, v[139:140]
	s_waitcnt vmcnt(9)
	v_mul_f64 v[141:142], v[16:17], v[54:55]
	s_waitcnt lgkmcnt(2)
	v_mul_f64 v[54:55], v[105:106], v[54:55]
	s_waitcnt vmcnt(8)
	v_mul_f64 v[143:144], v[84:85], v[46:47]
	v_mul_f64 v[46:47], v[88:89], v[46:47]
	s_waitcnt vmcnt(6)
	v_mul_f64 v[145:146], v[4:5], v[50:51]
	v_mul_f64 v[50:51], v[94:95], v[50:51]
	;; [unrolled: 1-line block ×3, first 2 shown]
	s_waitcnt lgkmcnt(1)
	v_mul_f64 v[42:43], v[111:112], v[42:43]
	v_mul_f64 v[149:150], v[18:19], v[30:31]
	;; [unrolled: 1-line block ×4, first 2 shown]
	s_waitcnt vmcnt(5)
	v_mul_f64 v[151:152], v[2:3], v[34:35]
	s_waitcnt vmcnt(4)
	v_mul_f64 v[155:156], v[10:11], v[38:39]
	v_mul_f64 v[26:27], v[109:110], v[26:27]
	;; [unrolled: 1-line block ×3, first 2 shown]
	s_waitcnt lgkmcnt(0)
	v_mul_f64 v[38:39], v[115:116], v[38:39]
	s_waitcnt vmcnt(3)
	v_mul_f64 v[157:158], v[76:77], v[66:67]
	s_waitcnt vmcnt(2)
	;; [unrolled: 2-line block ×4, first 2 shown]
	v_mul_f64 v[163:164], v[8:9], v[62:63]
	v_mul_f64 v[66:67], v[92:93], v[66:67]
	;; [unrolled: 1-line block ×5, first 2 shown]
	v_fma_f64 v[105:106], v[52:53], v[105:106], -v[141:142]
	v_fma_f64 v[16:17], v[16:17], v[52:53], v[54:55]
	v_fma_f64 v[52:53], v[44:45], v[88:89], -v[143:144]
	v_fma_f64 v[44:45], v[84:85], v[44:45], v[46:47]
	;; [unrolled: 2-line block ×5, first 2 shown]
	v_fma_f64 v[22:23], v[32:33], v[22:23], -v[151:152]
	v_fma_f64 v[28:29], v[24:25], v[109:110], -v[153:154]
	;; [unrolled: 1-line block ×3, first 2 shown]
	v_fma_f64 v[12:13], v[12:13], v[24:25], v[26:27]
	v_fma_f64 v[2:3], v[2:3], v[32:33], v[34:35]
	;; [unrolled: 1-line block ×3, first 2 shown]
	v_fma_f64 v[24:25], v[64:65], v[92:93], -v[157:158]
	v_fma_f64 v[26:27], v[56:57], v[90:91], -v[159:160]
	;; [unrolled: 1-line block ×4, first 2 shown]
	v_fma_f64 v[36:37], v[76:77], v[64:65], v[66:67]
	v_fma_f64 v[6:7], v[6:7], v[68:69], v[70:71]
	;; [unrolled: 1-line block ×4, first 2 shown]
	v_add_co_u32 v84, vcc_lo, v80, v127
	v_add_co_ci_u32_e32 v85, vcc_lo, v81, v128, vcc_lo
	v_add_f64 v[42:43], v[46:47], -v[105:106]
	v_add_f64 v[56:57], v[105:106], v[52:53]
	v_add_f64 v[58:59], v[16:17], -v[44:45]
	v_add_f64 v[60:61], v[105:106], -v[46:47]
	v_add_f64 v[64:65], v[46:47], v[48:49]
	v_add_f64 v[66:67], v[105:106], v[86:87]
	v_add_f64 v[68:69], v[4:5], -v[16:17]
	v_add_f64 v[76:77], v[105:106], -v[52:53]
	v_add_f64 v[78:79], v[16:17], v[44:45]
	v_add_f64 v[88:89], v[16:17], -v[4:5]
	v_add_f64 v[92:93], v[4:5], v[14:15]
	v_add_f64 v[16:17], v[74:75], v[16:17]
	v_add_f64 v[96:97], v[40:41], -v[22:23]
	v_add_f64 v[105:106], v[28:29], -v[30:31]
	v_add_f64 v[107:108], v[22:23], v[30:31]
	v_add_f64 v[109:110], v[22:23], -v[40:41]
	v_add_f64 v[111:112], v[30:31], -v[28:29]
	v_add_f64 v[113:114], v[40:41], v[28:29]
	v_add_f64 v[127:128], v[18:19], -v[2:3]
	v_add_f64 v[143:144], v[2:3], v[10:11]
	v_add_f64 v[145:146], v[2:3], -v[18:19]
	v_add_f64 v[151:152], v[72:73], v[2:3]
	v_add_f64 v[155:156], v[2:3], -v[10:11]
	v_add_f64 v[2:3], v[24:25], -v[26:27]
	;; [unrolled: 1-line block ×3, first 2 shown]
	v_add_f64 v[161:162], v[26:27], v[34:35]
	v_add_f64 v[167:168], v[24:25], v[32:33]
	;; [unrolled: 1-line block ×4, first 2 shown]
	v_add_f64 v[50:51], v[48:49], -v[52:53]
	v_add_f64 v[62:63], v[52:53], -v[48:49]
	v_add_f64 v[169:170], v[26:27], v[20:21]
	v_add_f64 v[115:116], v[22:23], v[82:83]
	;; [unrolled: 1-line block ×4, first 2 shown]
	v_add_f64 v[54:55], v[4:5], -v[14:15]
	v_add_f64 v[70:71], v[14:15], -v[44:45]
	v_add_f64 v[90:91], v[44:45], -v[14:15]
	v_add_f64 v[94:95], v[46:47], -v[48:49]
	v_add_f64 v[141:142], v[12:13], -v[10:11]
	v_add_f64 v[147:148], v[10:11], -v[12:13]
	v_add_f64 v[163:164], v[26:27], -v[24:25]
	v_add_f64 v[171:172], v[36:37], -v[38:39]
	v_add_f64 v[177:178], v[38:39], -v[36:37]
	v_add_f64 v[38:39], v[38:39], -v[8:9]
	v_add_f64 v[26:27], v[26:27], -v[34:35]
	v_fma_f64 v[56:57], v[56:57], -0.5, v[86:87]
	v_fma_f64 v[64:65], v[64:65], -0.5, v[86:87]
	;; [unrolled: 1-line block ×4, first 2 shown]
	v_add_f64 v[4:5], v[4:5], v[16:17]
	v_add_f64 v[16:17], v[46:47], v[66:67]
	;; [unrolled: 1-line block ×4, first 2 shown]
	v_fma_f64 v[86:87], v[107:108], -0.5, v[82:83]
	v_fma_f64 v[82:83], v[113:114], -0.5, v[82:83]
	v_add_f64 v[96:97], v[2:3], v[159:160]
	v_fma_f64 v[2:3], v[161:162], -0.5, v[20:21]
	v_fma_f64 v[20:21], v[167:168], -0.5, v[20:21]
	;; [unrolled: 1-line block ×4, first 2 shown]
	v_add_f64 v[153:154], v[18:19], -v[12:13]
	v_add_f64 v[42:43], v[42:43], v[50:51]
	v_add_f64 v[50:51], v[36:37], -v[6:7]
	v_add_f64 v[60:61], v[60:61], v[62:63]
	;; [unrolled: 2-line block ×4, first 2 shown]
	v_add_f64 v[40:41], v[40:41], v[115:116]
	v_add_f64 v[22:23], v[22:23], -v[30:31]
	v_fma_f64 v[92:93], v[143:144], -0.5, v[72:73]
	v_fma_f64 v[72:73], v[149:150], -0.5, v[72:73]
	v_add_f64 v[36:37], v[36:37], v[183:184]
	v_add_f64 v[165:166], v[34:35], -v[32:33]
	v_add_f64 v[179:180], v[8:9], -v[6:7]
	v_add_f64 v[68:69], v[68:69], v[70:71]
	v_add_f64 v[70:71], v[88:89], v[90:91]
	;; [unrolled: 1-line block ×4, first 2 shown]
	v_fma_f64 v[113:114], v[54:55], s[0:1], v[56:57]
	v_fma_f64 v[56:57], v[54:55], s[10:11], v[56:57]
	;; [unrolled: 1-line block ×4, first 2 shown]
	v_add_f64 v[16:17], v[48:49], v[16:17]
	v_fma_f64 v[48:49], v[94:95], s[10:11], v[78:79]
	v_fma_f64 v[78:79], v[94:95], s[0:1], v[78:79]
	v_fma_f64 v[127:128], v[76:77], s[0:1], v[74:75]
	v_fma_f64 v[74:75], v[76:77], s[10:11], v[74:75]
	v_fma_f64 v[141:142], v[155:156], s[10:11], v[82:83]
	v_fma_f64 v[147:148], v[38:39], s[10:11], v[20:21]
	v_fma_f64 v[20:21], v[38:39], s[0:1], v[20:21]
	v_fma_f64 v[149:150], v[26:27], s[10:11], v[0:1]
	v_add_f64 v[173:174], v[6:7], -v[8:9]
	v_add_f64 v[4:5], v[4:5], v[14:15]
	v_fma_f64 v[14:15], v[153:154], s[0:1], v[86:87]
	v_fma_f64 v[86:87], v[153:154], s[10:11], v[86:87]
	;; [unrolled: 1-line block ×4, first 2 shown]
	v_add_f64 v[24:25], v[32:33], v[24:25]
	v_fma_f64 v[32:33], v[62:63], s[10:11], v[109:110]
	v_fma_f64 v[109:110], v[62:63], s[0:1], v[109:110]
	v_add_f64 v[28:29], v[28:29], v[40:41]
	v_add_f64 v[12:13], v[18:19], v[12:13]
	v_fma_f64 v[18:19], v[50:51], s[0:1], v[2:3]
	v_fma_f64 v[151:152], v[26:27], s[0:1], v[0:1]
	v_fma_f64 v[143:144], v[22:23], s[0:1], v[72:73]
	v_fma_f64 v[72:73], v[22:23], s[10:11], v[72:73]
	v_fma_f64 v[40:41], v[157:158], s[10:11], v[92:93]
	v_fma_f64 v[92:93], v[157:158], s[0:1], v[92:93]
	v_add_f64 v[36:37], v[36:37], v[6:7]
	v_add_f64 v[105:106], v[163:164], v[165:166]
	;; [unrolled: 1-line block ×3, first 2 shown]
	v_fma_f64 v[113:114], v[58:59], s[6:7], v[113:114]
	v_fma_f64 v[56:57], v[58:59], s[8:9], v[56:57]
	;; [unrolled: 1-line block ×4, first 2 shown]
	v_add_f64 v[2:3], v[52:53], v[16:17]
	v_fma_f64 v[16:17], v[76:77], s[8:9], v[48:49]
	v_fma_f64 v[64:65], v[76:77], s[6:7], v[78:79]
	v_fma_f64 v[76:77], v[94:95], s[8:9], v[127:128]
	v_fma_f64 v[74:75], v[94:95], s[6:7], v[74:75]
	v_fma_f64 v[52:53], v[153:154], s[6:7], v[141:142]
	v_fma_f64 v[20:21], v[50:51], s[8:9], v[20:21]
	v_fma_f64 v[94:95], v[62:63], s[6:7], v[149:150]
	v_add_f64 v[107:108], v[171:172], v[173:174]
	v_add_f64 v[0:1], v[4:5], v[44:45]
	v_fma_f64 v[44:45], v[155:156], s[6:7], v[14:15]
	v_fma_f64 v[48:49], v[155:156], s[8:9], v[86:87]
	;; [unrolled: 1-line block ×5, first 2 shown]
	v_add_f64 v[6:7], v[30:31], v[28:29]
	v_fma_f64 v[28:29], v[38:39], s[6:7], v[18:19]
	v_fma_f64 v[32:33], v[26:27], s[8:9], v[32:33]
	;; [unrolled: 1-line block ×8, first 2 shown]
	v_add_f64 v[4:5], v[12:13], v[10:11]
	v_add_f64 v[10:11], v[34:35], v[24:25]
	;; [unrolled: 1-line block ×3, first 2 shown]
	v_fma_f64 v[26:27], v[60:61], s[4:5], v[54:55]
	v_fma_f64 v[38:39], v[66:67], s[4:5], v[52:53]
	;; [unrolled: 1-line block ×24, first 2 shown]
	v_add_co_u32 v60, vcc_lo, v80, v137
	v_add_co_ci_u32_e32 v61, vcc_lo, v81, v138, vcc_lo
	v_add_co_u32 v62, vcc_lo, v80, v139
	v_add_co_ci_u32_e32 v63, vcc_lo, v81, v140, vcc_lo
	global_store_dwordx4 v[117:118], v[8:11], off
	global_store_dwordx4 v[119:120], v[52:55], off
	;; [unrolled: 1-line block ×15, first 2 shown]
.LBB0_53:
	s_endpgm
	.section	.rodata,"a",@progbits
	.p2align	6, 0x0
	.amdhsa_kernel fft_rtc_back_len1680_factors_2_2_2_2_3_7_5_wgs_112_tpt_112_halfLds_dp_ip_CI_sbrr_dirReg
		.amdhsa_group_segment_fixed_size 0
		.amdhsa_private_segment_fixed_size 0
		.amdhsa_kernarg_size 88
		.amdhsa_user_sgpr_count 6
		.amdhsa_user_sgpr_private_segment_buffer 1
		.amdhsa_user_sgpr_dispatch_ptr 0
		.amdhsa_user_sgpr_queue_ptr 0
		.amdhsa_user_sgpr_kernarg_segment_ptr 1
		.amdhsa_user_sgpr_dispatch_id 0
		.amdhsa_user_sgpr_flat_scratch_init 0
		.amdhsa_user_sgpr_private_segment_size 0
		.amdhsa_wavefront_size32 1
		.amdhsa_uses_dynamic_stack 0
		.amdhsa_system_sgpr_private_segment_wavefront_offset 0
		.amdhsa_system_sgpr_workgroup_id_x 1
		.amdhsa_system_sgpr_workgroup_id_y 0
		.amdhsa_system_sgpr_workgroup_id_z 0
		.amdhsa_system_sgpr_workgroup_info 0
		.amdhsa_system_vgpr_workitem_id 0
		.amdhsa_next_free_vgpr 185
		.amdhsa_next_free_sgpr 28
		.amdhsa_reserve_vcc 1
		.amdhsa_reserve_flat_scratch 0
		.amdhsa_float_round_mode_32 0
		.amdhsa_float_round_mode_16_64 0
		.amdhsa_float_denorm_mode_32 3
		.amdhsa_float_denorm_mode_16_64 3
		.amdhsa_dx10_clamp 1
		.amdhsa_ieee_mode 1
		.amdhsa_fp16_overflow 0
		.amdhsa_workgroup_processor_mode 1
		.amdhsa_memory_ordered 1
		.amdhsa_forward_progress 0
		.amdhsa_shared_vgpr_count 0
		.amdhsa_exception_fp_ieee_invalid_op 0
		.amdhsa_exception_fp_denorm_src 0
		.amdhsa_exception_fp_ieee_div_zero 0
		.amdhsa_exception_fp_ieee_overflow 0
		.amdhsa_exception_fp_ieee_underflow 0
		.amdhsa_exception_fp_ieee_inexact 0
		.amdhsa_exception_int_div_zero 0
	.end_amdhsa_kernel
	.text
.Lfunc_end0:
	.size	fft_rtc_back_len1680_factors_2_2_2_2_3_7_5_wgs_112_tpt_112_halfLds_dp_ip_CI_sbrr_dirReg, .Lfunc_end0-fft_rtc_back_len1680_factors_2_2_2_2_3_7_5_wgs_112_tpt_112_halfLds_dp_ip_CI_sbrr_dirReg
                                        ; -- End function
	.section	.AMDGPU.csdata,"",@progbits
; Kernel info:
; codeLenInByte = 15128
; NumSgprs: 30
; NumVgprs: 185
; ScratchSize: 0
; MemoryBound: 1
; FloatMode: 240
; IeeeMode: 1
; LDSByteSize: 0 bytes/workgroup (compile time only)
; SGPRBlocks: 3
; VGPRBlocks: 23
; NumSGPRsForWavesPerEU: 30
; NumVGPRsForWavesPerEU: 185
; Occupancy: 5
; WaveLimiterHint : 1
; COMPUTE_PGM_RSRC2:SCRATCH_EN: 0
; COMPUTE_PGM_RSRC2:USER_SGPR: 6
; COMPUTE_PGM_RSRC2:TRAP_HANDLER: 0
; COMPUTE_PGM_RSRC2:TGID_X_EN: 1
; COMPUTE_PGM_RSRC2:TGID_Y_EN: 0
; COMPUTE_PGM_RSRC2:TGID_Z_EN: 0
; COMPUTE_PGM_RSRC2:TIDIG_COMP_CNT: 0
	.text
	.p2alignl 6, 3214868480
	.fill 48, 4, 3214868480
	.type	__hip_cuid_ec162050d0502a0e,@object ; @__hip_cuid_ec162050d0502a0e
	.section	.bss,"aw",@nobits
	.globl	__hip_cuid_ec162050d0502a0e
__hip_cuid_ec162050d0502a0e:
	.byte	0                               ; 0x0
	.size	__hip_cuid_ec162050d0502a0e, 1

	.ident	"AMD clang version 19.0.0git (https://github.com/RadeonOpenCompute/llvm-project roc-6.4.0 25133 c7fe45cf4b819c5991fe208aaa96edf142730f1d)"
	.section	".note.GNU-stack","",@progbits
	.addrsig
	.addrsig_sym __hip_cuid_ec162050d0502a0e
	.amdgpu_metadata
---
amdhsa.kernels:
  - .args:
      - .actual_access:  read_only
        .address_space:  global
        .offset:         0
        .size:           8
        .value_kind:     global_buffer
      - .offset:         8
        .size:           8
        .value_kind:     by_value
      - .actual_access:  read_only
        .address_space:  global
        .offset:         16
        .size:           8
        .value_kind:     global_buffer
      - .actual_access:  read_only
        .address_space:  global
        .offset:         24
        .size:           8
        .value_kind:     global_buffer
      - .offset:         32
        .size:           8
        .value_kind:     by_value
      - .actual_access:  read_only
        .address_space:  global
        .offset:         40
        .size:           8
        .value_kind:     global_buffer
      - .actual_access:  read_only
        .address_space:  global
        .offset:         48
        .size:           8
        .value_kind:     global_buffer
      - .offset:         56
        .size:           4
        .value_kind:     by_value
      - .actual_access:  read_only
        .address_space:  global
        .offset:         64
        .size:           8
        .value_kind:     global_buffer
      - .actual_access:  read_only
        .address_space:  global
        .offset:         72
        .size:           8
        .value_kind:     global_buffer
      - .address_space:  global
        .offset:         80
        .size:           8
        .value_kind:     global_buffer
    .group_segment_fixed_size: 0
    .kernarg_segment_align: 8
    .kernarg_segment_size: 88
    .language:       OpenCL C
    .language_version:
      - 2
      - 0
    .max_flat_workgroup_size: 112
    .name:           fft_rtc_back_len1680_factors_2_2_2_2_3_7_5_wgs_112_tpt_112_halfLds_dp_ip_CI_sbrr_dirReg
    .private_segment_fixed_size: 0
    .sgpr_count:     30
    .sgpr_spill_count: 0
    .symbol:         fft_rtc_back_len1680_factors_2_2_2_2_3_7_5_wgs_112_tpt_112_halfLds_dp_ip_CI_sbrr_dirReg.kd
    .uniform_work_group_size: 1
    .uses_dynamic_stack: false
    .vgpr_count:     185
    .vgpr_spill_count: 0
    .wavefront_size: 32
    .workgroup_processor_mode: 1
amdhsa.target:   amdgcn-amd-amdhsa--gfx1030
amdhsa.version:
  - 1
  - 2
...

	.end_amdgpu_metadata
